;; amdgpu-corpus repo=ROCm/rocFFT kind=compiled arch=gfx906 opt=O3
	.text
	.amdgcn_target "amdgcn-amd-amdhsa--gfx906"
	.amdhsa_code_object_version 6
	.protected	bluestein_single_fwd_len935_dim1_dp_op_CI_CI ; -- Begin function bluestein_single_fwd_len935_dim1_dp_op_CI_CI
	.globl	bluestein_single_fwd_len935_dim1_dp_op_CI_CI
	.p2align	8
	.type	bluestein_single_fwd_len935_dim1_dp_op_CI_CI,@function
bluestein_single_fwd_len935_dim1_dp_op_CI_CI: ; @bluestein_single_fwd_len935_dim1_dp_op_CI_CI
; %bb.0:
	s_mov_b64 s[66:67], s[2:3]
	v_mul_u32_u24_e32 v1, 0x304, v0
	s_mov_b64 s[64:65], s[0:1]
	s_load_dwordx4 s[0:3], s[4:5], 0x28
	v_lshrrev_b32_e32 v1, 16, v1
	s_add_u32 s64, s64, s7
	v_mad_u64_u32 v[3:4], s[6:7], s6, 3, v[1:2]
	v_mov_b32_e32 v4, 0
	s_addc_u32 s65, s65, 0
	s_waitcnt lgkmcnt(0)
	v_cmp_gt_u64_e32 vcc, s[0:1], v[3:4]
	s_and_saveexec_b64 s[0:1], vcc
	s_cbranch_execz .LBB0_23
; %bb.1:
	s_mov_b32 s0, 0xaaaaaaab
	v_mul_hi_u32 v2, v3, s0
	v_mul_lo_u16_e32 v1, 0x55, v1
	s_load_dwordx2 s[12:13], s[4:5], 0x0
	s_load_dwordx2 s[14:15], s[4:5], 0x38
	v_sub_u16_e32 v4, v0, v1
	v_lshrrev_b32_e32 v0, 1, v2
	v_lshl_add_u32 v0, v0, 1, v0
	v_sub_u32_e32 v0, v3, v0
	v_mov_b32_e32 v1, v3
	v_mul_u32_u24_e32 v0, 0x3a7, v0
	buffer_store_dword v1, off, s[64:67], 0 offset:12 ; 4-byte Folded Spill
	s_nop 0
	buffer_store_dword v2, off, s[64:67], 0 offset:16 ; 4-byte Folded Spill
	v_cmp_gt_u16_e64 s[0:1], 55, v4
	buffer_store_dword v0, off, s[64:67], 0 offset:4 ; 4-byte Folded Spill
	v_lshlrev_b32_e32 v0, 4, v0
	buffer_store_dword v4, off, s[64:67], 0 ; 4-byte Folded Spill
	buffer_store_dword v0, off, s[64:67], 0 offset:8 ; 4-byte Folded Spill
	s_and_saveexec_b64 s[6:7], s[0:1]
	s_cbranch_execz .LBB0_3
; %bb.2:
	s_load_dwordx2 s[8:9], s[4:5], 0x18
	s_waitcnt lgkmcnt(0)
	v_mov_b32_e32 v24, s13
	s_load_dwordx4 s[8:11], s[8:9], 0x0
	buffer_load_dword v0, off, s[64:67], 0 offset:12 ; 4-byte Folded Reload
	buffer_load_dword v1, off, s[64:67], 0 offset:16 ; 4-byte Folded Reload
	buffer_load_dword v141, off, s[64:67], 0 ; 4-byte Folded Reload
	s_waitcnt vmcnt(2)
	v_mov_b32_e32 v4, v0
	s_waitcnt vmcnt(1) lgkmcnt(0)
	v_mad_u64_u32 v[0:1], s[16:17], s10, v4, 0
	s_waitcnt vmcnt(0)
	v_mad_u64_u32 v[2:3], s[16:17], s8, v141, 0
	v_lshlrev_b32_e32 v140, 4, v141
	v_mad_u64_u32 v[4:5], s[10:11], s11, v4, v[1:2]
	v_mad_u64_u32 v[5:6], s[10:11], s9, v141, v[3:4]
	v_mov_b32_e32 v1, v4
	v_lshlrev_b64 v[0:1], 4, v[0:1]
	v_mov_b32_e32 v3, v5
	v_mov_b32_e32 v6, s3
	v_lshlrev_b64 v[2:3], 4, v[2:3]
	v_add_co_u32_e32 v0, vcc, s2, v0
	v_addc_co_u32_e32 v1, vcc, v6, v1, vcc
	v_add_co_u32_e32 v44, vcc, v0, v2
	v_addc_co_u32_e32 v45, vcc, v1, v3, vcc
	global_load_dwordx4 v[0:3], v140, s[12:13]
	global_load_dwordx4 v[4:7], v[44:45], off
	v_add_co_u32_e32 v118, vcc, s12, v140
	s_movk_i32 s2, 0x1000
	v_addc_co_u32_e32 v119, vcc, 0, v24, vcc
	v_add_co_u32_e32 v46, vcc, s2, v118
	s_mul_i32 s3, s9, 0x370
	s_mul_hi_u32 s9, s8, 0x370
	v_addc_co_u32_e32 v47, vcc, 0, v119, vcc
	s_mul_i32 s2, s8, 0x370
	s_add_i32 s3, s9, s3
	global_load_dwordx4 v[8:11], v140, s[12:13] offset:880
	global_load_dwordx4 v[12:15], v140, s[12:13] offset:1760
	;; [unrolled: 1-line block ×4, first 2 shown]
	global_load_dwordx4 v[24:27], v[46:47], off offset:304
	global_load_dwordx4 v[28:31], v[46:47], off offset:1184
	;; [unrolled: 1-line block ×5, first 2 shown]
	v_mov_b32_e32 v46, s3
	v_add_co_u32_e32 v47, vcc, s2, v44
	v_addc_co_u32_e32 v48, vcc, v45, v46, vcc
	v_mov_b32_e32 v50, s3
	v_add_co_u32_e32 v49, vcc, s2, v47
	v_addc_co_u32_e32 v50, vcc, v48, v50, vcc
	;; [unrolled: 3-line block ×10, first 2 shown]
	s_movk_i32 s8, 0x2000
	v_add_co_u32_e32 v112, vcc, s8, v118
	v_addc_co_u32_e32 v113, vcc, 0, v119, vcc
	v_mov_b32_e32 v86, s3
	v_add_co_u32_e32 v96, vcc, s2, v84
	v_addc_co_u32_e32 v97, vcc, v85, v86, vcc
	v_mov_b32_e32 v98, s3
	;; [unrolled: 3-line block ×3, first 2 shown]
	v_add_co_u32_e32 v114, vcc, s2, v100
	v_addc_co_u32_e32 v115, vcc, v101, v102, vcc
	global_load_dwordx4 v[44:47], v[47:48], off
	s_waitcnt vmcnt(10)
	v_mul_f64 v[136:137], v[6:7], v[2:3]
	global_load_dwordx4 v[52:55], v[55:56], off
	v_add_co_u32_e32 v116, vcc, s2, v114
	global_load_dwordx4 v[48:51], v[49:50], off
	s_movk_i32 s8, 0x3000
	global_load_dwordx4 v[56:59], v[59:60], off
	v_mov_b32_e32 v130, s3
	global_load_dwordx4 v[60:63], v[63:64], off
	v_mul_f64 v[138:139], v[4:5], v[2:3]
	global_load_dwordx4 v[64:67], v[67:68], off
	v_fma_f64 v[2:3], v[4:5], v[0:1], v[136:137]
	global_load_dwordx4 v[68:71], v[71:72], off
	v_fma_f64 v[4:5], v[6:7], v[0:1], -v[138:139]
	global_load_dwordx4 v[72:75], v[75:76], off
	s_waitcnt vmcnt(7)
	v_mul_f64 v[0:1], v[46:47], v[10:11]
	global_load_dwordx4 v[76:79], v[80:81], off
	v_fma_f64 v[0:1], v[44:45], v[8:9], v[0:1]
	global_load_dwordx4 v[80:83], v[84:85], off
	s_nop 0
	global_load_dwordx4 v[84:87], v[96:97], off
	global_load_dwordx4 v[88:91], v[112:113], off offset:608
	global_load_dwordx4 v[92:95], v[112:113], off offset:1488
	s_nop 0
	global_load_dwordx4 v[96:99], v[100:101], off
	s_nop 0
	global_load_dwordx4 v[100:103], v[114:115], off
	global_load_dwordx4 v[104:107], v[112:113], off offset:2368
	global_load_dwordx4 v[108:111], v[112:113], off offset:3248
	v_mov_b32_e32 v112, s3
	v_addc_co_u32_e32 v117, vcc, v115, v112, vcc
	v_add_co_u32_e32 v132, vcc, s8, v118
	v_addc_co_u32_e32 v133, vcc, 0, v119, vcc
	v_mov_b32_e32 v118, s3
	v_add_co_u32_e32 v128, vcc, s2, v116
	v_addc_co_u32_e32 v129, vcc, v117, v118, vcc
	global_load_dwordx4 v[112:115], v[116:117], off
	s_nop 0
	global_load_dwordx4 v[116:119], v[128:129], off
	global_load_dwordx4 v[120:123], v[132:133], off offset:32
	global_load_dwordx4 v[124:127], v[132:133], off offset:912
	v_add_co_u32_e32 v128, vcc, s2, v128
	v_addc_co_u32_e32 v129, vcc, v129, v130, vcc
	global_load_dwordx4 v[128:131], v[128:129], off
	s_nop 0
	global_load_dwordx4 v[132:135], v[132:133], off offset:1792
	s_nop 0
	buffer_load_dword v136, off, s[64:67], 0 offset:8 ; 4-byte Folded Reload
	s_waitcnt vmcnt(0)
	v_lshl_add_u32 v6, v141, 4, v136
	ds_write_b128 v6, v[2:5]
	v_mul_f64 v[2:3], v[44:45], v[10:11]
	v_mul_f64 v[4:5], v[50:51], v[14:15]
	v_mul_f64 v[6:7], v[48:49], v[14:15]
	v_mul_f64 v[10:11], v[54:55], v[18:19]
	v_mul_f64 v[14:15], v[52:53], v[18:19]
	v_mul_f64 v[18:19], v[58:59], v[22:23]
	v_mul_f64 v[22:23], v[56:57], v[22:23]
	v_add_u32_e32 v44, v136, v140
	v_fma_f64 v[2:3], v[46:47], v[8:9], -v[2:3]
	v_fma_f64 v[4:5], v[48:49], v[12:13], v[4:5]
	v_fma_f64 v[6:7], v[50:51], v[12:13], -v[6:7]
	v_fma_f64 v[8:9], v[52:53], v[16:17], v[10:11]
	;; [unrolled: 2-line block ×3, first 2 shown]
	v_mul_f64 v[16:17], v[62:63], v[26:27]
	v_mul_f64 v[18:19], v[60:61], v[26:27]
	v_fma_f64 v[14:15], v[58:59], v[20:21], -v[22:23]
	v_mul_f64 v[20:21], v[66:67], v[30:31]
	v_mul_f64 v[22:23], v[64:65], v[30:31]
	;; [unrolled: 1-line block ×6, first 2 shown]
	v_fma_f64 v[16:17], v[60:61], v[24:25], v[16:17]
	v_fma_f64 v[18:19], v[62:63], v[24:25], -v[18:19]
	v_fma_f64 v[20:21], v[64:65], v[28:29], v[20:21]
	v_fma_f64 v[22:23], v[66:67], v[28:29], -v[22:23]
	;; [unrolled: 2-line block ×4, first 2 shown]
	ds_write_b128 v44, v[0:3] offset:880
	ds_write_b128 v44, v[4:7] offset:1760
	;; [unrolled: 1-line block ×8, first 2 shown]
	v_mul_f64 v[0:1], v[78:79], v[42:43]
	v_mul_f64 v[2:3], v[76:77], v[42:43]
	;; [unrolled: 1-line block ×16, first 2 shown]
	v_fma_f64 v[0:1], v[76:77], v[40:41], v[0:1]
	v_fma_f64 v[2:3], v[78:79], v[40:41], -v[2:3]
	v_fma_f64 v[4:5], v[80:81], v[88:89], v[4:5]
	v_fma_f64 v[6:7], v[82:83], v[88:89], -v[6:7]
	;; [unrolled: 2-line block ×8, first 2 shown]
	ds_write_b128 v44, v[0:3] offset:7920
	ds_write_b128 v44, v[4:7] offset:8800
	;; [unrolled: 1-line block ×8, first 2 shown]
.LBB0_3:
	s_or_b64 exec, exec, s[6:7]
	s_load_dwordx2 s[2:3], s[4:5], 0x20
	s_load_dwordx2 s[8:9], s[4:5], 0x8
	s_waitcnt vmcnt(0) lgkmcnt(0)
	s_barrier
	s_waitcnt lgkmcnt(0)
                                        ; implicit-def: $vgpr8_vgpr9
                                        ; implicit-def: $vgpr68_vgpr69
                                        ; implicit-def: $vgpr72_vgpr73
                                        ; implicit-def: $vgpr64_vgpr65
                                        ; implicit-def: $vgpr60_vgpr61
                                        ; implicit-def: $vgpr56_vgpr57
                                        ; implicit-def: $vgpr52_vgpr53
                                        ; implicit-def: $vgpr12_vgpr13
                                        ; implicit-def: $vgpr16_vgpr17
                                        ; implicit-def: $vgpr20_vgpr21
                                        ; implicit-def: $vgpr24_vgpr25
                                        ; implicit-def: $vgpr28_vgpr29
                                        ; implicit-def: $vgpr32_vgpr33
                                        ; implicit-def: $vgpr36_vgpr37
                                        ; implicit-def: $vgpr40_vgpr41
                                        ; implicit-def: $vgpr44_vgpr45
                                        ; implicit-def: $vgpr48_vgpr49
	s_and_saveexec_b64 s[4:5], s[0:1]
	s_cbranch_execz .LBB0_5
; %bb.4:
	buffer_load_dword v0, off, s[64:67], 0  ; 4-byte Folded Reload
	buffer_load_dword v1, off, s[64:67], 0 offset:4 ; 4-byte Folded Reload
	s_waitcnt vmcnt(1)
	v_lshlrev_b32_e32 v0, 4, v0
	s_waitcnt vmcnt(0)
	v_lshl_add_u32 v0, v1, 4, v0
	ds_read_b128 v[8:11], v0
	ds_read_b128 v[68:71], v0 offset:880
	ds_read_b128 v[72:75], v0 offset:1760
	;; [unrolled: 1-line block ×16, first 2 shown]
.LBB0_5:
	s_or_b64 exec, exec, s[4:5]
	s_waitcnt lgkmcnt(1)
	v_add_f64 v[229:230], v[74:75], -v[46:47]
	v_add_f64 v[227:228], v[72:73], -v[44:45]
	s_mov_b32 s30, 0xeb564b22
	s_mov_b32 s42, 0x6c9a05f6
	;; [unrolled: 1-line block ×4, first 2 shown]
	s_waitcnt lgkmcnt(0)
	v_add_f64 v[209:210], v[68:69], -v[48:49]
	s_mov_b32 s26, 0x5d8e7cdc
	v_mul_f64 v[92:93], v[229:230], s[42:43]
	v_mul_f64 v[90:91], v[227:228], s[30:31]
	;; [unrolled: 1-line block ×3, first 2 shown]
	s_mov_b32 s27, 0xbfd71e95
	v_add_f64 v[221:222], v[70:71], -v[50:51]
	v_add_f64 v[84:85], v[70:71], v[50:51]
	v_mul_f64 v[239:240], v[209:210], s[26:27]
	s_mov_b32 s4, 0x370991
	buffer_store_dword v90, off, s[64:67], 0 offset:20 ; 4-byte Folded Spill
	s_nop 0
	buffer_store_dword v91, off, s[64:67], 0 offset:24 ; 4-byte Folded Spill
	buffer_store_dword v92, off, s[64:67], 0 offset:68 ; 4-byte Folded Spill
	s_nop 0
	buffer_store_dword v93, off, s[64:67], 0 offset:72 ; 4-byte Folded Spill
	;; [unrolled: 3-line block ×3, first 2 shown]
	s_mov_b32 s34, 0x2a9d6da3
	s_mov_b32 s5, 0x3fedd6d0
	;; [unrolled: 1-line block ×3, first 2 shown]
	v_add_f64 v[82:83], v[68:69], v[48:49]
	v_mul_f64 v[231:232], v[221:222], s[26:27]
	v_fma_f64 v[2:3], v[84:85], s[4:5], -v[239:240]
	v_add_f64 v[122:123], v[74:75], v[46:47]
	v_mul_f64 v[249:250], v[227:228], s[34:35]
	s_mov_b32 s36, 0x7c9e640b
	s_mov_b32 s16, 0x75d4884
	;; [unrolled: 1-line block ×4, first 2 shown]
	v_mul_f64 v[241:242], v[221:222], s[34:35]
	v_mul_f64 v[243:244], v[209:210], s[34:35]
	v_fma_f64 v[0:1], v[82:83], s[4:5], v[231:232]
	v_mul_f64 v[245:246], v[221:222], s[36:37]
	v_mul_f64 v[253:254], v[209:210], s[36:37]
	v_add_f64 v[2:3], v[10:11], v[2:3]
	v_add_f64 v[120:121], v[72:73], v[44:45]
	v_mul_f64 v[247:248], v[229:230], s[34:35]
	v_fma_f64 v[86:87], v[122:123], s[16:17], -v[249:250]
	s_mov_b32 s6, 0x2b2883cd
	s_mov_b32 s7, 0x3fdc86fa
	v_fma_f64 v[4:5], v[82:83], s[16:17], v[241:242]
	v_fma_f64 v[6:7], v[84:85], s[16:17], -v[243:244]
	v_fma_f64 v[76:77], v[82:83], s[6:7], v[245:246]
	v_fma_f64 v[78:79], v[84:85], s[6:7], -v[253:254]
	v_add_f64 v[0:1], v[8:9], v[0:1]
	v_mul_f64 v[251:252], v[229:230], s[30:31]
	v_fma_f64 v[80:81], v[120:121], s[16:17], v[247:248]
	v_add_f64 v[2:3], v[86:87], v[2:3]
	v_add_f64 v[86:87], v[66:67], -v[42:43]
	s_mov_b32 s10, 0x3259b75e
	s_mov_b32 s20, 0x6ed5f1bb
	;; [unrolled: 1-line block ×4, first 2 shown]
	v_add_f64 v[4:5], v[8:9], v[4:5]
	v_add_f64 v[6:7], v[10:11], v[6:7]
	;; [unrolled: 1-line block ×4, first 2 shown]
	v_fma_f64 v[88:89], v[120:121], s[10:11], v[251:252]
	v_add_f64 v[0:1], v[80:81], v[0:1]
	v_add_f64 v[233:234], v[64:65], -v[40:41]
	v_mul_f64 v[80:81], v[86:87], s[36:37]
	s_mov_b32 s40, 0xacd6c6b4
	s_mov_b32 s41, 0xbfc7851a
	;; [unrolled: 1-line block ×4, first 2 shown]
	v_add_f64 v[4:5], v[88:89], v[4:5]
	buffer_store_dword v80, off, s[64:67], 0 offset:52 ; 4-byte Folded Spill
	s_nop 0
	buffer_store_dword v81, off, s[64:67], 0 offset:56 ; 4-byte Folded Spill
	v_mul_f64 v[88:89], v[233:234], s[36:37]
	v_mul_f64 v[96:97], v[233:234], s[50:51]
	v_add_f64 v[112:113], v[62:63], -v[38:39]
	buffer_store_dword v88, off, s[64:67], 0 offset:84 ; 4-byte Folded Spill
	s_nop 0
	buffer_store_dword v89, off, s[64:67], 0 offset:88 ; 4-byte Folded Spill
	v_add_f64 v[138:139], v[64:65], v[40:41]
	v_mul_f64 v[100:101], v[112:113], s[30:31]
	v_add_f64 v[142:143], v[66:67], v[42:43]
	s_mov_b32 s24, 0x7faef3
	s_mov_b32 s25, 0xbfef7484
	v_add_f64 v[152:153], v[60:61], v[36:37]
	s_mov_b32 s38, 0x923c349f
	s_mov_b32 s39, 0xbfeec746
	;; [unrolled: 1-line block ×4, first 2 shown]
	v_add_f64 v[154:155], v[62:63], v[38:39]
	s_mov_b32 s18, 0xc61f0d01
	s_mov_b32 s19, 0xbfd183b1
	v_add_f64 v[156:157], v[58:59], -v[34:35]
	v_add_f64 v[124:125], v[56:57], -v[32:33]
	v_fma_f64 v[90:91], v[122:123], s[10:11], -v[90:91]
	v_fma_f64 v[92:93], v[120:121], s[20:21], v[92:93]
	v_fma_f64 v[94:95], v[122:123], s[20:21], -v[94:95]
	s_mov_b32 s48, 0x4363dd80
	s_mov_b32 s49, 0x3fe0d888
	v_add_f64 v[168:169], v[56:57], v[32:33]
	v_add_f64 v[172:173], v[58:59], v[34:35]
	s_mov_b32 s22, 0x910ea3b9
	v_add_f64 v[6:7], v[90:91], v[6:7]
	v_add_f64 v[76:77], v[92:93], v[76:77]
	;; [unrolled: 1-line block ×3, first 2 shown]
	v_mul_f64 v[90:91], v[86:87], s[42:43]
	v_mul_f64 v[92:93], v[233:234], s[42:43]
	;; [unrolled: 1-line block ×3, first 2 shown]
	s_mov_b32 s23, 0xbfeb34fa
	buffer_store_dword v90, off, s[64:67], 0 offset:100 ; 4-byte Folded Spill
	s_nop 0
	buffer_store_dword v91, off, s[64:67], 0 offset:104 ; 4-byte Folded Spill
	buffer_store_dword v92, off, s[64:67], 0 offset:180 ; 4-byte Folded Spill
	s_nop 0
	buffer_store_dword v93, off, s[64:67], 0 offset:184 ; 4-byte Folded Spill
	;; [unrolled: 3-line block ×5, first 2 shown]
	s_mov_b32 s47, 0x3fe58eea
	s_mov_b32 s46, s34
	v_add_f64 v[162:163], v[54:55], -v[30:31]
	v_add_f64 v[158:159], v[52:53], -v[28:29]
	v_add_f64 v[188:189], v[52:53], v[28:29]
	v_add_f64 v[190:191], v[54:55], v[30:31]
	v_add_f64 v[164:165], v[14:15], -v[26:27]
	s_mov_b32 s53, 0xbfe0d888
	s_mov_b32 s52, s48
	v_add_f64 v[160:161], v[12:13], -v[24:25]
	v_add_f64 v[201:202], v[12:13], v[24:25]
	v_mul_f64 v[104:105], v[158:159], s[44:45]
	s_mov_b32 s57, 0x3feca52d
	s_mov_b32 s56, s36
	v_add_f64 v[203:204], v[14:15], v[26:27]
	v_add_f64 v[170:171], v[18:19], -v[22:23]
	v_add_f64 v[166:167], v[16:17], -v[20:21]
	s_mov_b32 s55, 0x3fd71e95
	s_mov_b32 s54, s26
	v_add_f64 v[215:216], v[16:17], v[20:21]
	v_mul_f64 v[98:99], v[221:222], s[30:31]
	v_add_f64 v[217:218], v[18:19], v[22:23]
	s_mov_b32 s59, 0x3fe9895b
	s_mov_b32 s58, s42
	v_mul_f64 v[132:133], v[209:210], s[38:39]
	v_mul_f64 v[134:135], v[227:228], s[48:49]
	;; [unrolled: 1-line block ×6, first 2 shown]
	v_fma_f64 v[80:81], v[138:139], s[6:7], v[80:81]
	v_mul_f64 v[144:145], v[124:125], s[40:41]
	s_mov_b32 s61, 0x3fefdd0d
	s_mov_b32 s60, s30
	v_mul_f64 v[126:127], v[162:163], s[60:61]
	v_mul_f64 v[146:147], v[158:159], s[60:61]
	;; [unrolled: 1-line block ×4, first 2 shown]
	v_add_f64 v[0:1], v[80:81], v[0:1]
	v_fma_f64 v[80:81], v[142:143], s[6:7], -v[88:89]
	v_add_f64 v[88:89], v[60:61], -v[36:37]
	v_mul_f64 v[130:131], v[170:171], s[42:43]
	v_mul_f64 v[150:151], v[166:167], s[42:43]
	;; [unrolled: 1-line block ×6, first 2 shown]
	v_add_f64 v[2:3], v[80:81], v[2:3]
	v_mul_f64 v[102:103], v[88:89], s[30:31]
	buffer_store_dword v102, off, s[64:67], 0 offset:148 ; 4-byte Folded Spill
	s_nop 0
	buffer_store_dword v103, off, s[64:67], 0 offset:152 ; 4-byte Folded Spill
	v_mul_f64 v[136:137], v[88:89], s[36:37]
	v_mul_f64 v[180:181], v[86:87], s[26:27]
	;; [unrolled: 1-line block ×13, first 2 shown]
	v_fma_f64 v[90:91], v[138:139], s[20:21], v[90:91]
	v_fma_f64 v[92:93], v[142:143], s[20:21], -v[92:93]
	v_fma_f64 v[94:95], v[138:139], s[24:25], v[94:95]
	v_fma_f64 v[96:97], v[142:143], s[24:25], -v[96:97]
	v_fma_f64 v[80:81], v[152:153], s[10:11], v[100:101]
	v_mul_f64 v[100:101], v[88:89], s[44:45]
	v_add_f64 v[4:5], v[90:91], v[4:5]
	v_add_f64 v[6:7], v[92:93], v[6:7]
	;; [unrolled: 1-line block ×4, first 2 shown]
	v_mul_f64 v[92:93], v[112:113], s[40:41]
	v_mul_f64 v[94:95], v[88:89], s[40:41]
	;; [unrolled: 1-line block ×3, first 2 shown]
	buffer_store_dword v92, off, s[64:67], 0 offset:164 ; 4-byte Folded Spill
	s_nop 0
	buffer_store_dword v93, off, s[64:67], 0 offset:168 ; 4-byte Folded Spill
	buffer_store_dword v94, off, s[64:67], 0 offset:228 ; 4-byte Folded Spill
	s_nop 0
	buffer_store_dword v95, off, s[64:67], 0 offset:232 ; 4-byte Folded Spill
	;; [unrolled: 3-line block ×4, first 2 shown]
	v_add_f64 v[0:1], v[80:81], v[0:1]
	v_fma_f64 v[90:91], v[154:155], s[10:11], -v[102:103]
	v_mul_f64 v[102:103], v[162:163], s[26:27]
	v_add_f64 v[2:3], v[90:91], v[2:3]
	v_fma_f64 v[92:93], v[152:153], s[24:25], v[92:93]
	v_fma_f64 v[80:81], v[154:155], s[24:25], -v[94:95]
	v_fma_f64 v[90:91], v[152:153], s[18:19], v[96:97]
	v_fma_f64 v[94:95], v[154:155], s[18:19], -v[100:101]
	v_mul_f64 v[96:97], v[124:125], s[38:39]
	v_mul_f64 v[100:101], v[156:157], s[46:47]
	v_add_f64 v[4:5], v[92:93], v[4:5]
	v_mul_f64 v[92:93], v[156:157], s[38:39]
	buffer_store_dword v92, off, s[64:67], 0 offset:204 ; 4-byte Folded Spill
	s_nop 0
	buffer_store_dword v93, off, s[64:67], 0 offset:208 ; 4-byte Folded Spill
	v_add_f64 v[78:79], v[94:95], v[78:79]
	v_mul_f64 v[94:95], v[156:157], s[48:49]
	buffer_store_dword v96, off, s[64:67], 0 offset:212 ; 4-byte Folded Spill
	s_nop 0
	buffer_store_dword v97, off, s[64:67], 0 offset:216 ; 4-byte Folded Spill
	buffer_store_dword v94, off, s[64:67], 0 offset:220 ; 4-byte Folded Spill
	s_nop 0
	buffer_store_dword v95, off, s[64:67], 0 offset:224 ; 4-byte Folded Spill
	v_add_f64 v[6:7], v[80:81], v[6:7]
	v_add_f64 v[76:77], v[90:91], v[76:77]
	v_fma_f64 v[80:81], v[168:169], s[18:19], v[92:93]
	v_fma_f64 v[90:91], v[172:173], s[18:19], -v[96:97]
	v_mul_f64 v[96:97], v[124:125], s[48:49]
	buffer_store_dword v96, off, s[64:67], 0 offset:276 ; 4-byte Folded Spill
	s_nop 0
	buffer_store_dword v97, off, s[64:67], 0 offset:280 ; 4-byte Folded Spill
	v_fma_f64 v[92:93], v[168:169], s[22:23], v[94:95]
	v_mul_f64 v[94:95], v[124:125], s[46:47]
	buffer_store_dword v100, off, s[64:67], 0 offset:292 ; 4-byte Folded Spill
	s_nop 0
	buffer_store_dword v101, off, s[64:67], 0 offset:296 ; 4-byte Folded Spill
	buffer_store_dword v94, off, s[64:67], 0 offset:340 ; 4-byte Folded Spill
	s_nop 0
	buffer_store_dword v95, off, s[64:67], 0 offset:344 ; 4-byte Folded Spill
	v_add_f64 v[0:1], v[80:81], v[0:1]
	v_add_f64 v[2:3], v[90:91], v[2:3]
	;; [unrolled: 1-line block ×3, first 2 shown]
	v_fma_f64 v[80:81], v[172:173], s[22:23], -v[96:97]
	v_mul_f64 v[96:97], v[158:159], s[42:43]
	v_fma_f64 v[90:91], v[168:169], s[16:17], v[100:101]
	v_mul_f64 v[100:101], v[162:163], s[44:45]
	v_add_f64 v[6:7], v[80:81], v[6:7]
	v_fma_f64 v[92:93], v[172:173], s[16:17], -v[94:95]
	v_mul_f64 v[94:95], v[162:163], s[42:43]
	buffer_store_dword v94, off, s[64:67], 0 offset:252 ; 4-byte Folded Spill
	s_nop 0
	buffer_store_dword v95, off, s[64:67], 0 offset:256 ; 4-byte Folded Spill
	buffer_store_dword v96, off, s[64:67], 0 offset:260 ; 4-byte Folded Spill
	s_nop 0
	buffer_store_dword v97, off, s[64:67], 0 offset:264 ; 4-byte Folded Spill
	;; [unrolled: 3-line block ×4, first 2 shown]
	v_add_f64 v[78:79], v[92:93], v[78:79]
	buffer_store_dword v102, off, s[64:67], 0 offset:324 ; 4-byte Folded Spill
	s_nop 0
	buffer_store_dword v103, off, s[64:67], 0 offset:328 ; 4-byte Folded Spill
	v_add_f64 v[76:77], v[90:91], v[76:77]
	v_fma_f64 v[80:81], v[188:189], s[20:21], v[94:95]
	v_fma_f64 v[90:91], v[190:191], s[20:21], -v[96:97]
	v_fma_f64 v[92:93], v[188:189], s[18:19], v[100:101]
	v_fma_f64 v[94:95], v[190:191], s[18:19], -v[104:105]
	v_mul_f64 v[104:105], v[158:159], s[26:27]
	v_mul_f64 v[100:101], v[164:165], s[52:53]
	buffer_store_dword v104, off, s[64:67], 0 offset:388 ; 4-byte Folded Spill
	s_nop 0
	buffer_store_dword v105, off, s[64:67], 0 offset:392 ; 4-byte Folded Spill
	buffer_store_dword v100, off, s[64:67], 0 offset:300 ; 4-byte Folded Spill
	s_nop 0
	buffer_store_dword v101, off, s[64:67], 0 offset:304 ; 4-byte Folded Spill
	v_fma_f64 v[96:97], v[188:189], s[4:5], v[102:103]
	v_mul_f64 v[102:103], v[160:161], s[52:53]
	v_add_f64 v[2:3], v[90:91], v[2:3]
	v_add_f64 v[6:7], v[94:95], v[6:7]
	buffer_store_dword v102, off, s[64:67], 0 offset:308 ; 4-byte Folded Spill
	s_nop 0
	buffer_store_dword v103, off, s[64:67], 0 offset:312 ; 4-byte Folded Spill
	v_add_f64 v[76:77], v[96:97], v[76:77]
	v_mul_f64 v[94:95], v[164:165], s[56:57]
	v_mul_f64 v[96:97], v[164:165], s[30:31]
	buffer_store_dword v94, off, s[64:67], 0 offset:316 ; 4-byte Folded Spill
	s_nop 0
	buffer_store_dword v95, off, s[64:67], 0 offset:320 ; 4-byte Folded Spill
	v_add_f64 v[0:1], v[80:81], v[0:1]
	v_add_f64 v[4:5], v[92:93], v[4:5]
	v_fma_f64 v[80:81], v[190:191], s[4:5], -v[104:105]
	v_fma_f64 v[90:91], v[201:202], s[22:23], v[100:101]
	v_mul_f64 v[100:101], v[160:161], s[56:57]
	buffer_store_dword v100, off, s[64:67], 0 offset:372 ; 4-byte Folded Spill
	s_nop 0
	buffer_store_dword v101, off, s[64:67], 0 offset:376 ; 4-byte Folded Spill
	buffer_store_dword v96, off, s[64:67], 0 offset:364 ; 4-byte Folded Spill
	s_nop 0
	buffer_store_dword v97, off, s[64:67], 0 offset:368 ; 4-byte Folded Spill
	v_fma_f64 v[92:93], v[203:204], s[22:23], -v[102:103]
	v_add_f64 v[78:79], v[80:81], v[78:79]
	v_add_f64 v[0:1], v[90:91], v[0:1]
	v_mul_f64 v[104:105], v[160:161], s[30:31]
	buffer_store_dword v104, off, s[64:67], 0 offset:420 ; 4-byte Folded Spill
	s_nop 0
	buffer_store_dword v105, off, s[64:67], 0 offset:424 ; 4-byte Folded Spill
	v_add_f64 v[2:3], v[92:93], v[2:3]
	v_fma_f64 v[80:81], v[201:202], s[6:7], v[94:95]
	v_mul_f64 v[94:95], v[170:171], s[40:41]
	buffer_store_dword v94, off, s[64:67], 0 offset:348 ; 4-byte Folded Spill
	s_nop 0
	buffer_store_dword v95, off, s[64:67], 0 offset:352 ; 4-byte Folded Spill
	v_mul_f64 v[102:103], v[166:167], s[54:55]
	v_add_f64 v[4:5], v[80:81], v[4:5]
	v_fma_f64 v[90:91], v[203:204], s[6:7], -v[100:101]
	v_fma_f64 v[92:93], v[201:202], s[10:11], v[96:97]
	v_mul_f64 v[96:97], v[166:167], s[40:41]
	v_mul_f64 v[100:101], v[170:171], s[54:55]
	buffer_store_dword v96, off, s[64:67], 0 offset:356 ; 4-byte Folded Spill
	s_nop 0
	buffer_store_dword v97, off, s[64:67], 0 offset:360 ; 4-byte Folded Spill
	buffer_store_dword v100, off, s[64:67], 0 offset:380 ; 4-byte Folded Spill
	s_nop 0
	buffer_store_dword v101, off, s[64:67], 0 offset:384 ; 4-byte Folded Spill
	v_add_f64 v[6:7], v[90:91], v[6:7]
	buffer_store_dword v102, off, s[64:67], 0 offset:396 ; 4-byte Folded Spill
	s_nop 0
	buffer_store_dword v103, off, s[64:67], 0 offset:400 ; 4-byte Folded Spill
	buffer_store_dword v98, off, s[64:67], 0 offset:36 ; 4-byte Folded Spill
	s_nop 0
	buffer_store_dword v99, off, s[64:67], 0 offset:40 ; 4-byte Folded Spill
	v_fma_f64 v[80:81], v[203:204], s[10:11], -v[104:105]
	v_add_f64 v[76:77], v[92:93], v[76:77]
	v_add_f64 v[78:79], v[80:81], v[78:79]
	v_fma_f64 v[90:91], v[215:216], s[24:25], v[94:95]
	v_add_f64 v[223:224], v[90:91], v[0:1]
	v_mul_f64 v[90:91], v[209:210], s[30:31]
	v_fma_f64 v[92:93], v[217:218], s[24:25], -v[96:97]
	v_fma_f64 v[94:95], v[215:216], s[4:5], v[100:101]
	v_mul_f64 v[100:101], v[170:171], s[52:53]
	buffer_store_dword v100, off, s[64:67], 0 offset:404 ; 4-byte Folded Spill
	s_nop 0
	buffer_store_dword v101, off, s[64:67], 0 offset:408 ; 4-byte Folded Spill
	v_fma_f64 v[96:97], v[217:218], s[4:5], -v[102:103]
	v_mul_f64 v[102:103], v[166:167], s[52:53]
	v_fma_f64 v[80:81], v[82:83], s[10:11], v[98:99]
	v_add_f64 v[235:236], v[94:95], v[4:5]
	buffer_store_dword v102, off, s[64:67], 0 offset:412 ; 4-byte Folded Spill
	s_nop 0
	buffer_store_dword v103, off, s[64:67], 0 offset:416 ; 4-byte Folded Spill
	v_add_f64 v[237:238], v[96:97], v[6:7]
	v_mul_f64 v[6:7], v[229:230], s[40:41]
	v_add_f64 v[4:5], v[8:9], v[80:81]
	v_add_f64 v[225:226], v[92:93], v[2:3]
	v_mul_f64 v[92:93], v[86:87], s[44:45]
	v_mul_f64 v[80:81], v[166:167], s[46:47]
	;; [unrolled: 1-line block ×3, first 2 shown]
	v_fma_f64 v[0:1], v[215:216], s[22:23], v[100:101]
	v_add_f64 v[96:97], v[0:1], v[76:77]
	v_fma_f64 v[0:1], v[120:121], s[24:25], v[6:7]
	v_fma_f64 v[2:3], v[217:218], s[22:23], -v[102:103]
	v_mul_f64 v[76:77], v[112:113], s[54:55]
	v_add_f64 v[0:1], v[0:1], v[4:5]
	v_mul_f64 v[4:5], v[227:228], s[40:41]
	buffer_store_dword v4, off, s[64:67], 0 offset:452 ; 4-byte Folded Spill
	s_nop 0
	buffer_store_dword v5, off, s[64:67], 0 offset:456 ; 4-byte Folded Spill
	v_add_f64 v[98:99], v[2:3], v[78:79]
	v_fma_f64 v[2:3], v[84:85], s[10:11], -v[90:91]
	v_mul_f64 v[78:79], v[170:171], s[46:47]
	v_add_f64 v[2:3], v[10:11], v[2:3]
	v_fma_f64 v[4:5], v[122:123], s[24:25], -v[4:5]
	v_add_f64 v[2:3], v[4:5], v[2:3]
	v_fma_f64 v[4:5], v[138:139], s[18:19], v[92:93]
	v_add_f64 v[0:1], v[4:5], v[0:1]
	v_mul_f64 v[4:5], v[233:234], s[44:45]
	buffer_store_dword v4, off, s[64:67], 0 offset:468 ; 4-byte Folded Spill
	s_nop 0
	buffer_store_dword v5, off, s[64:67], 0 offset:472 ; 4-byte Folded Spill
	v_fma_f64 v[4:5], v[142:143], s[18:19], -v[4:5]
	v_add_f64 v[2:3], v[4:5], v[2:3]
	v_fma_f64 v[4:5], v[152:153], s[4:5], v[76:77]
	v_add_f64 v[0:1], v[4:5], v[0:1]
	v_mul_f64 v[4:5], v[88:89], s[54:55]
	buffer_store_dword v4, off, s[64:67], 0 offset:460 ; 4-byte Folded Spill
	s_nop 0
	buffer_store_dword v5, off, s[64:67], 0 offset:464 ; 4-byte Folded Spill
	v_fma_f64 v[4:5], v[154:155], s[4:5], -v[4:5]
	v_add_f64 v[2:3], v[4:5], v[2:3]
	v_mul_f64 v[4:5], v[156:157], s[36:37]
	buffer_store_dword v4, off, s[64:67], 0 offset:436 ; 4-byte Folded Spill
	s_nop 0
	buffer_store_dword v5, off, s[64:67], 0 offset:440 ; 4-byte Folded Spill
	v_fma_f64 v[4:5], v[168:169], s[6:7], v[4:5]
	v_add_f64 v[0:1], v[4:5], v[0:1]
	v_mul_f64 v[4:5], v[124:125], s[36:37]
	buffer_store_dword v4, off, s[64:67], 0 offset:476 ; 4-byte Folded Spill
	s_nop 0
	buffer_store_dword v5, off, s[64:67], 0 offset:480 ; 4-byte Folded Spill
	v_fma_f64 v[4:5], v[172:173], s[6:7], -v[4:5]
	v_add_f64 v[2:3], v[4:5], v[2:3]
	v_mul_f64 v[4:5], v[162:163], s[52:53]
	buffer_store_dword v4, off, s[64:67], 0 offset:444 ; 4-byte Folded Spill
	s_nop 0
	buffer_store_dword v5, off, s[64:67], 0 offset:448 ; 4-byte Folded Spill
	;; [unrolled: 12-line block ×3, first 2 shown]
	v_fma_f64 v[4:5], v[201:202], s[20:21], v[4:5]
	v_add_f64 v[0:1], v[4:5], v[0:1]
	v_mul_f64 v[4:5], v[160:161], s[58:59]
	buffer_store_dword v4, off, s[64:67], 0 offset:508 ; 4-byte Folded Spill
	s_nop 0
	buffer_store_dword v5, off, s[64:67], 0 offset:512 ; 4-byte Folded Spill
	v_fma_f64 v[4:5], v[203:204], s[20:21], -v[4:5]
	v_add_f64 v[2:3], v[4:5], v[2:3]
	v_fma_f64 v[4:5], v[215:216], s[16:17], v[78:79]
	v_add_f64 v[100:101], v[4:5], v[0:1]
	v_fma_f64 v[0:1], v[217:218], s[16:17], -v[80:81]
	v_fma_f64 v[4:5], v[122:123], s[22:23], -v[134:135]
	v_add_f64 v[102:103], v[0:1], v[2:3]
	v_mul_f64 v[0:1], v[221:222], s[38:39]
	buffer_store_dword v0, off, s[64:67], 0 offset:524 ; 4-byte Folded Spill
	s_nop 0
	buffer_store_dword v1, off, s[64:67], 0 offset:528 ; 4-byte Folded Spill
	v_fma_f64 v[2:3], v[120:121], s[22:23], v[94:95]
	s_waitcnt vmcnt(0)
	s_barrier
	v_fma_f64 v[0:1], v[82:83], s[18:19], v[0:1]
	v_add_f64 v[0:1], v[8:9], v[0:1]
	v_add_f64 v[0:1], v[2:3], v[0:1]
	v_fma_f64 v[2:3], v[84:85], s[18:19], -v[132:133]
	v_add_f64 v[2:3], v[10:11], v[2:3]
	v_add_f64 v[2:3], v[4:5], v[2:3]
	v_fma_f64 v[4:5], v[138:139], s[16:17], v[116:117]
	v_add_f64 v[0:1], v[4:5], v[0:1]
	v_fma_f64 v[4:5], v[142:143], s[16:17], -v[140:141]
	v_add_f64 v[2:3], v[4:5], v[2:3]
	v_fma_f64 v[4:5], v[152:153], s[6:7], v[114:115]
	v_add_f64 v[0:1], v[4:5], v[0:1]
	v_fma_f64 v[4:5], v[154:155], s[6:7], -v[136:137]
	;; [unrolled: 4-line block ×6, first 2 shown]
	v_fma_f64 v[4:5], v[122:123], s[18:19], -v[197:198]
	v_add_f64 v[106:107], v[0:1], v[2:3]
	v_fma_f64 v[0:1], v[82:83], s[20:21], v[174:175]
	v_fma_f64 v[2:3], v[120:121], s[18:19], v[176:177]
	v_add_f64 v[0:1], v[8:9], v[0:1]
	v_add_f64 v[0:1], v[2:3], v[0:1]
	v_fma_f64 v[2:3], v[84:85], s[20:21], -v[195:196]
	v_add_f64 v[2:3], v[10:11], v[2:3]
	v_add_f64 v[2:3], v[4:5], v[2:3]
	v_fma_f64 v[4:5], v[138:139], s[4:5], v[180:181]
	v_add_f64 v[0:1], v[4:5], v[0:1]
	v_fma_f64 v[4:5], v[142:143], s[4:5], -v[205:206]
	v_add_f64 v[2:3], v[4:5], v[2:3]
	v_fma_f64 v[4:5], v[152:153], s[22:23], v[178:179]
	v_add_f64 v[0:1], v[4:5], v[0:1]
	v_fma_f64 v[4:5], v[154:155], s[22:23], -v[199:200]
	;; [unrolled: 4-line block ×6, first 2 shown]
	v_add_f64 v[110:111], v[0:1], v[2:3]
	s_and_saveexec_b64 s[28:29], s[0:1]
	s_cbranch_execz .LBB0_7
; %bb.6:
	v_add_f64 v[2:3], v[8:9], v[68:69]
	v_mul_f64 v[4:5], v[84:85], s[24:25]
	buffer_store_dword v6, off, s[64:67], 0 offset:644 ; 4-byte Folded Spill
	s_nop 0
	buffer_store_dword v7, off, s[64:67], 0 offset:648 ; 4-byte Folded Spill
	v_add_f64 v[0:1], v[10:11], v[70:71]
	buffer_store_dword v76, off, s[64:67], 0 offset:652 ; 4-byte Folded Spill
	s_nop 0
	buffer_store_dword v77, off, s[64:67], 0 offset:656 ; 4-byte Folded Spill
	buffer_store_dword v78, off, s[64:67], 0 offset:628 ; 4-byte Folded Spill
	s_nop 0
	buffer_store_dword v79, off, s[64:67], 0 offset:632 ; 4-byte Folded Spill
	v_mov_b32_e32 v76, v223
	v_mov_b32_e32 v77, v224
	;; [unrolled: 1-line block ×3, first 2 shown]
	v_add_f64 v[2:3], v[2:3], v[72:73]
	v_fma_f64 v[6:7], v[209:210], s[50:51], v[4:5]
	v_mul_f64 v[72:73], v[122:123], s[4:5]
	v_add_f64 v[0:1], v[0:1], v[74:75]
	v_mul_f64 v[74:75], v[221:222], s[40:41]
	v_fma_f64 v[4:5], v[209:210], s[40:41], v[4:5]
	v_mov_b32_e32 v79, v226
	v_mul_f64 v[223:224], v[229:230], s[54:55]
	v_mul_f64 v[225:226], v[142:143], s[22:23]
	v_add_f64 v[6:7], v[10:11], v[6:7]
	v_fma_f64 v[68:69], v[227:228], s[26:27], v[72:73]
	v_fma_f64 v[72:73], v[227:228], s[54:55], v[72:73]
	buffer_store_dword v231, off, s[64:67], 0 offset:540 ; 4-byte Folded Spill
	s_nop 0
	buffer_store_dword v232, off, s[64:67], 0 offset:544 ; 4-byte Folded Spill
	v_add_f64 v[4:5], v[10:11], v[4:5]
	v_mul_f64 v[231:232], v[86:87], s[52:53]
	v_fma_f64 v[70:71], v[120:121], s[4:5], v[223:224]
	buffer_store_dword v90, off, s[64:67], 0 offset:676 ; 4-byte Folded Spill
	s_nop 0
	buffer_store_dword v91, off, s[64:67], 0 offset:680 ; 4-byte Folded Spill
	buffer_store_dword v92, off, s[64:67], 0 offset:660 ; 4-byte Folded Spill
	s_nop 0
	buffer_store_dword v93, off, s[64:67], 0 offset:664 ; 4-byte Folded Spill
	v_mov_b32_e32 v90, v235
	v_add_f64 v[6:7], v[68:69], v[6:7]
	v_fma_f64 v[68:69], v[82:83], s[24:25], v[74:75]
	v_mov_b32_e32 v91, v236
	v_add_f64 v[4:5], v[72:73], v[4:5]
	v_fma_f64 v[72:73], v[82:83], s[24:25], -v[74:75]
	v_fma_f64 v[74:75], v[120:121], s[4:5], -v[223:224]
	v_mov_b32_e32 v92, v237
	v_mov_b32_e32 v93, v238
	v_mul_f64 v[235:236], v[154:155], s[16:17]
	v_add_f64 v[68:69], v[8:9], v[68:69]
	v_mul_f64 v[237:238], v[112:113], s[46:47]
	buffer_store_dword v239, off, s[64:67], 0 offset:572 ; 4-byte Folded Spill
	s_nop 0
	buffer_store_dword v240, off, s[64:67], 0 offset:576 ; 4-byte Folded Spill
	v_add_f64 v[72:73], v[8:9], v[72:73]
	v_mul_f64 v[239:240], v[172:173], s[20:21]
	buffer_store_dword v241, off, s[64:67], 0 offset:556 ; 4-byte Folded Spill
	s_nop 0
	buffer_store_dword v242, off, s[64:67], 0 offset:560 ; 4-byte Folded Spill
	v_mul_f64 v[241:242], v[156:157], s[42:43]
	buffer_store_dword v243, off, s[64:67], 0 offset:620 ; 4-byte Folded Spill
	s_nop 0
	buffer_store_dword v244, off, s[64:67], 0 offset:624 ; 4-byte Folded Spill
	v_add_f64 v[68:69], v[70:71], v[68:69]
	v_fma_f64 v[70:71], v[233:234], s[48:49], v[225:226]
	v_mul_f64 v[243:244], v[190:191], s[6:7]
	v_add_f64 v[72:73], v[74:75], v[72:73]
	v_fma_f64 v[74:75], v[233:234], s[52:53], v[225:226]
	buffer_store_dword v245, off, s[64:67], 0 offset:636 ; 4-byte Folded Spill
	s_nop 0
	buffer_store_dword v246, off, s[64:67], 0 offset:640 ; 4-byte Folded Spill
	v_mul_f64 v[245:246], v[162:163], s[56:57]
	buffer_store_dword v247, off, s[64:67], 0 offset:588 ; 4-byte Folded Spill
	s_nop 0
	buffer_store_dword v248, off, s[64:67], 0 offset:592 ; 4-byte Folded Spill
	v_mul_f64 v[247:248], v[203:204], s[18:19]
	v_add_f64 v[6:7], v[70:71], v[6:7]
	v_fma_f64 v[70:71], v[138:139], s[22:23], v[231:232]
	buffer_store_dword v249, off, s[64:67], 0 offset:604 ; 4-byte Folded Spill
	s_nop 0
	buffer_store_dword v250, off, s[64:67], 0 offset:608 ; 4-byte Folded Spill
	v_add_f64 v[4:5], v[74:75], v[4:5]
	v_fma_f64 v[74:75], v[138:139], s[22:23], -v[231:232]
	v_mul_f64 v[249:250], v[164:165], s[38:39]
	buffer_store_dword v251, off, s[64:67], 0 offset:612 ; 4-byte Folded Spill
	s_nop 0
	buffer_store_dword v252, off, s[64:67], 0 offset:616 ; 4-byte Folded Spill
	v_mul_f64 v[251:252], v[217:218], s[10:11]
	buffer_store_dword v253, off, s[64:67], 0 offset:668 ; 4-byte Folded Spill
	s_nop 0
	buffer_store_dword v254, off, s[64:67], 0 offset:672 ; 4-byte Folded Spill
	v_add_f64 v[68:69], v[70:71], v[68:69]
	v_fma_f64 v[70:71], v[88:89], s[34:35], v[235:236]
	v_mul_f64 v[223:224], v[122:123], s[6:7]
	v_add_f64 v[72:73], v[74:75], v[72:73]
	v_fma_f64 v[74:75], v[88:89], s[46:47], v[235:236]
	v_add_f64 v[2:3], v[2:3], v[64:65]
	v_mul_f64 v[225:226], v[142:143], s[10:11]
	v_mul_f64 v[231:232], v[154:155], s[20:21]
	;; [unrolled: 1-line block ×3, first 2 shown]
	v_add_f64 v[6:7], v[70:71], v[6:7]
	v_fma_f64 v[70:71], v[152:153], s[16:17], v[237:238]
	v_fma_f64 v[64:65], v[227:228], s[36:37], v[223:224]
	v_add_f64 v[4:5], v[74:75], v[4:5]
	v_fma_f64 v[74:75], v[152:153], s[16:17], -v[237:238]
	v_mul_f64 v[237:238], v[190:191], s[24:25]
	v_mul_f64 v[221:222], v[221:222], s[52:53]
	;; [unrolled: 1-line block ×3, first 2 shown]
	v_add_f64 v[0:1], v[0:1], v[66:67]
	v_add_f64 v[68:69], v[70:71], v[68:69]
	v_fma_f64 v[70:71], v[124:125], s[58:59], v[239:240]
	v_mul_f64 v[86:87], v[86:87], s[30:31]
	v_add_f64 v[72:73], v[74:75], v[72:73]
	v_fma_f64 v[74:75], v[124:125], s[42:43], v[239:240]
	v_mul_f64 v[239:240], v[203:204], s[16:17]
	v_fma_f64 v[66:67], v[120:121], s[6:7], v[229:230]
	v_mul_f64 v[112:113], v[112:113], s[58:59]
	v_mul_f64 v[156:157], v[156:157], s[26:27]
	v_add_f64 v[6:7], v[70:71], v[6:7]
	v_fma_f64 v[70:71], v[168:169], s[20:21], v[241:242]
	v_mul_f64 v[162:163], v[162:163], s[40:41]
	v_add_f64 v[4:5], v[74:75], v[4:5]
	v_fma_f64 v[74:75], v[168:169], s[20:21], -v[241:242]
	v_mul_f64 v[164:165], v[164:165], s[46:47]
	v_mul_f64 v[241:242], v[217:218], s[18:19]
	v_add_f64 v[2:3], v[2:3], v[60:61]
	v_fma_f64 v[60:61], v[227:228], s[56:57], v[223:224]
	v_add_f64 v[68:69], v[70:71], v[68:69]
	v_fma_f64 v[70:71], v[158:159], s[36:37], v[243:244]
	v_add_f64 v[0:1], v[0:1], v[62:63]
	v_add_f64 v[72:73], v[74:75], v[72:73]
	v_fma_f64 v[74:75], v[158:159], s[56:57], v[243:244]
	v_fma_f64 v[62:63], v[120:121], s[6:7], -v[229:230]
	v_add_f64 v[6:7], v[70:71], v[6:7]
	v_fma_f64 v[70:71], v[188:189], s[6:7], v[245:246]
	v_add_f64 v[4:5], v[74:75], v[4:5]
	v_fma_f64 v[74:75], v[160:161], s[38:39], v[247:248]
	;; [unrolled: 2-line block ×3, first 2 shown]
	v_add_f64 v[4:5], v[74:75], v[4:5]
	v_fma_f64 v[74:75], v[188:189], s[6:7], -v[245:246]
	v_add_f64 v[6:7], v[70:71], v[6:7]
	v_fma_f64 v[70:71], v[201:202], s[18:19], v[249:250]
	v_add_f64 v[72:73], v[74:75], v[72:73]
	v_fma_f64 v[74:75], v[201:202], s[18:19], -v[249:250]
	v_add_f64 v[68:69], v[70:71], v[68:69]
	v_fma_f64 v[70:71], v[166:167], s[30:31], v[251:252]
	v_add_f64 v[72:73], v[74:75], v[72:73]
	v_fma_f64 v[74:75], v[166:167], s[60:61], v[251:252]
	v_add_f64 v[70:71], v[70:71], v[6:7]
	v_mul_f64 v[6:7], v[170:171], s[60:61]
	v_mul_f64 v[170:171], v[170:171], s[38:39]
	v_add_f64 v[74:75], v[74:75], v[4:5]
	v_mul_f64 v[4:5], v[84:85], s[22:23]
	v_fma_f64 v[253:254], v[215:216], s[10:11], v[6:7]
	v_fma_f64 v[6:7], v[215:216], s[10:11], -v[6:7]
	v_add_f64 v[68:69], v[253:254], v[68:69]
	v_add_f64 v[72:73], v[6:7], v[72:73]
	v_fma_f64 v[6:7], v[209:210], s[48:49], v[4:5]
	v_fma_f64 v[4:5], v[209:210], s[52:53], v[4:5]
	v_add_f64 v[6:7], v[10:11], v[6:7]
	v_add_f64 v[4:5], v[10:11], v[4:5]
	;; [unrolled: 1-line block ×3, first 2 shown]
	v_fma_f64 v[64:65], v[233:234], s[60:61], v[225:226]
	v_add_f64 v[4:5], v[60:61], v[4:5]
	v_fma_f64 v[60:61], v[88:89], s[58:59], v[231:232]
	v_add_f64 v[6:7], v[64:65], v[6:7]
	v_fma_f64 v[64:65], v[88:89], s[42:43], v[231:232]
	v_mul_f64 v[88:89], v[84:85], s[10:11]
	v_add_f64 v[6:7], v[64:65], v[6:7]
	v_fma_f64 v[64:65], v[124:125], s[54:55], v[235:236]
	v_add_f64 v[6:7], v[64:65], v[6:7]
	v_fma_f64 v[64:65], v[158:159], s[50:51], v[237:238]
	;; [unrolled: 2-line block ×4, first 2 shown]
	v_add_f64 v[64:65], v[8:9], v[64:65]
	v_add_f64 v[64:65], v[66:67], v[64:65]
	v_fma_f64 v[66:67], v[138:139], s[10:11], v[86:87]
	v_add_f64 v[64:65], v[66:67], v[64:65]
	v_fma_f64 v[66:67], v[152:153], s[20:21], v[112:113]
	;; [unrolled: 2-line block ×8, first 2 shown]
	v_mov_b32_e32 v226, v79
	v_mov_b32_e32 v225, v78
	;; [unrolled: 1-line block ×4, first 2 shown]
	buffer_load_dword v76, off, s[64:67], 0 offset:524 ; 4-byte Folded Reload
	buffer_load_dword v77, off, s[64:67], 0 offset:528 ; 4-byte Folded Reload
	v_add_f64 v[4:5], v[6:7], v[4:5]
	v_fma_f64 v[6:7], v[124:125], s[26:27], v[235:236]
	v_add_f64 v[4:5], v[60:61], v[4:5]
	v_fma_f64 v[60:61], v[158:159], s[40:41], v[237:238]
	v_mov_b32_e32 v238, v93
	v_mov_b32_e32 v237, v92
	v_mov_b32_e32 v236, v91
	v_mov_b32_e32 v235, v90
	v_mul_f64 v[92:93], v[122:123], s[24:25]
	v_mul_f64 v[158:159], v[188:189], s[4:5]
	v_add_f64 v[4:5], v[6:7], v[4:5]
	v_fma_f64 v[6:7], v[160:161], s[46:47], v[239:240]
	v_add_f64 v[4:5], v[60:61], v[4:5]
	v_fma_f64 v[60:61], v[166:167], s[38:39], v[241:242]
	v_add_f64 v[4:5], v[6:7], v[4:5]
	v_fma_f64 v[6:7], v[82:83], s[22:23], -v[221:222]
	v_add_f64 v[6:7], v[8:9], v[6:7]
	v_add_f64 v[6:7], v[62:63], v[6:7]
	v_fma_f64 v[62:63], v[138:139], s[10:11], -v[86:87]
	v_fma_f64 v[86:87], v[215:216], s[18:19], -v[170:171]
	v_mul_f64 v[170:171], v[217:218], s[4:5]
	v_add_f64 v[6:7], v[62:63], v[6:7]
	v_fma_f64 v[62:63], v[152:153], s[20:21], -v[112:113]
	v_add_f64 v[6:7], v[62:63], v[6:7]
	v_fma_f64 v[62:63], v[168:169], s[4:5], -v[156:157]
	v_mul_f64 v[156:157], v[190:191], s[18:19]
	v_add_f64 v[6:7], v[62:63], v[6:7]
	v_fma_f64 v[62:63], v[188:189], s[24:25], -v[162:163]
	v_mul_f64 v[162:163], v[203:204], s[6:7]
	;; [unrolled: 3-line block ×3, first 2 shown]
	v_add_f64 v[6:7], v[62:63], v[6:7]
	v_add_f64 v[62:63], v[60:61], v[4:5]
	;; [unrolled: 1-line block ×3, first 2 shown]
	v_mul_f64 v[0:1], v[142:143], s[4:5]
	v_mul_f64 v[58:59], v[82:83], s[20:21]
	v_add_f64 v[60:61], v[86:87], v[6:7]
	v_add_f64 v[6:7], v[2:3], v[56:57]
	v_mul_f64 v[2:3], v[84:85], s[20:21]
	v_mul_f64 v[56:57], v[122:123], s[18:19]
	v_add_f64 v[0:1], v[205:206], v[0:1]
	v_add_f64 v[58:59], v[58:59], -v[174:175]
	v_mul_f64 v[86:87], v[120:121], s[18:19]
	v_add_f64 v[4:5], v[4:5], v[54:55]
	v_add_f64 v[54:55], v[6:7], v[52:53]
	;; [unrolled: 1-line block ×4, first 2 shown]
	v_mul_f64 v[52:53], v[84:85], s[18:19]
	v_add_f64 v[58:59], v[8:9], v[58:59]
	v_add_f64 v[86:87], v[86:87], -v[176:177]
	v_mul_f64 v[6:7], v[142:143], s[16:17]
	v_add_f64 v[4:5], v[4:5], v[14:15]
	v_add_f64 v[12:13], v[54:55], v[12:13]
	;; [unrolled: 1-line block ×5, first 2 shown]
	v_mul_f64 v[86:87], v[152:153], s[22:23]
	v_add_f64 v[6:7], v[140:141], v[6:7]
	v_add_f64 v[4:5], v[4:5], v[18:19]
	;; [unrolled: 1-line block ×3, first 2 shown]
	v_mul_f64 v[56:57], v[154:155], s[22:23]
	v_add_f64 v[52:53], v[10:11], v[52:53]
	v_add_f64 v[12:13], v[12:13], v[16:17]
	v_add_f64 v[86:87], v[86:87], -v[178:179]
	v_add_f64 v[4:5], v[4:5], v[22:23]
	v_add_f64 v[0:1], v[0:1], v[2:3]
	v_add_f64 v[56:57], v[199:200], v[56:57]
	v_mul_f64 v[2:3], v[172:173], s[10:11]
	v_add_f64 v[12:13], v[12:13], v[20:21]
	v_add_f64 v[4:5], v[4:5], v[26:27]
	v_add_f64 v[0:1], v[56:57], v[0:1]
	v_add_f64 v[2:3], v[207:208], v[2:3]
	v_mul_f64 v[56:57], v[190:191], s[16:17]
	v_add_f64 v[12:13], v[12:13], v[24:25]
	v_add_f64 v[4:5], v[4:5], v[30:31]
	v_add_f64 v[0:1], v[2:3], v[0:1]
	v_add_f64 v[56:57], v[211:212], v[56:57]
	v_mul_f64 v[2:3], v[203:204], s[24:25]
	v_add_f64 v[12:13], v[12:13], v[28:29]
	v_add_f64 v[4:5], v[4:5], v[34:35]
	v_add_f64 v[0:1], v[56:57], v[0:1]
	v_add_f64 v[2:3], v[213:214], v[2:3]
	v_mul_f64 v[56:57], v[217:218], s[6:7]
	v_add_f64 v[12:13], v[12:13], v[32:33]
	v_add_f64 v[4:5], v[4:5], v[38:39]
	v_add_f64 v[0:1], v[2:3], v[0:1]
	v_mul_f64 v[2:3], v[138:139], s[4:5]
	v_add_f64 v[56:57], v[219:220], v[56:57]
	v_add_f64 v[12:13], v[12:13], v[36:37]
	;; [unrolled: 1-line block ×3, first 2 shown]
	v_add_f64 v[2:3], v[2:3], -v[180:181]
	v_add_f64 v[12:13], v[12:13], v[40:41]
	v_add_f64 v[4:5], v[4:5], v[46:47]
	;; [unrolled: 1-line block ×3, first 2 shown]
	v_mul_f64 v[58:59], v[168:169], s[10:11]
	v_add_f64 v[12:13], v[12:13], v[44:45]
	v_add_f64 v[2:3], v[86:87], v[2:3]
	v_add_f64 v[58:59], v[58:59], -v[182:183]
	v_mul_f64 v[86:87], v[188:189], s[16:17]
	v_add_f64 v[2:3], v[58:59], v[2:3]
	v_add_f64 v[86:87], v[86:87], -v[184:185]
	v_mul_f64 v[58:59], v[201:202], s[24:25]
	;; [unrolled: 3-line block ×3, first 2 shown]
	v_add_f64 v[58:59], v[58:59], v[2:3]
	v_add_f64 v[2:3], v[56:57], v[0:1]
	v_mul_f64 v[56:57], v[122:123], s[22:23]
	v_add_f64 v[86:87], v[86:87], -v[193:194]
	v_add_f64 v[56:57], v[134:135], v[56:57]
	v_add_f64 v[0:1], v[86:87], v[58:59]
	v_mul_f64 v[58:59], v[82:83], s[18:19]
	v_mul_f64 v[86:87], v[120:121], s[22:23]
	;; [unrolled: 1-line block ×3, first 2 shown]
	v_add_f64 v[52:53], v[56:57], v[52:53]
	v_mul_f64 v[56:57], v[154:155], s[6:7]
	s_waitcnt vmcnt(0)
	v_add_f64 v[58:59], v[58:59], -v[76:77]
	buffer_load_dword v76, off, s[64:67], 0 offset:468 ; 4-byte Folded Reload
	buffer_load_dword v77, off, s[64:67], 0 offset:472 ; 4-byte Folded Reload
	v_add_f64 v[86:87], v[86:87], -v[94:95]
	v_add_f64 v[6:7], v[6:7], v[52:53]
	v_add_f64 v[56:57], v[136:137], v[56:57]
	v_mul_f64 v[52:53], v[172:173], s[24:25]
	v_add_f64 v[58:59], v[8:9], v[58:59]
	v_mul_f64 v[136:137], v[142:143], s[20:21]
	v_add_f64 v[6:7], v[56:57], v[6:7]
	v_add_f64 v[52:53], v[144:145], v[52:53]
	v_mul_f64 v[56:57], v[190:191], s[10:11]
	v_add_f64 v[58:59], v[86:87], v[58:59]
	v_mul_f64 v[86:87], v[152:153], s[6:7]
	v_mul_f64 v[144:145], v[154:155], s[24:25]
	v_add_f64 v[6:7], v[52:53], v[6:7]
	v_add_f64 v[56:57], v[146:147], v[56:57]
	v_mul_f64 v[52:53], v[203:204], s[4:5]
	v_add_f64 v[86:87], v[86:87], -v[114:115]
	v_add_f64 v[6:7], v[56:57], v[6:7]
	v_add_f64 v[52:53], v[148:149], v[52:53]
	v_mul_f64 v[56:57], v[217:218], s[20:21]
	v_add_f64 v[6:7], v[52:53], v[6:7]
	v_mul_f64 v[52:53], v[138:139], s[16:17]
	;; [unrolled: 2-line block ×3, first 2 shown]
	v_add_f64 v[52:53], v[52:53], -v[116:117]
	v_add_f64 v[6:7], v[56:57], v[6:7]
	v_add_f64 v[52:53], v[52:53], v[58:59]
	v_mul_f64 v[58:59], v[168:169], s[24:25]
	v_add_f64 v[52:53], v[86:87], v[52:53]
	v_add_f64 v[58:59], v[58:59], -v[118:119]
	v_mul_f64 v[86:87], v[188:189], s[10:11]
	v_add_f64 v[52:53], v[58:59], v[52:53]
	v_add_f64 v[86:87], v[86:87], -v[126:127]
	;; [unrolled: 3-line block ×3, first 2 shown]
	v_mul_f64 v[86:87], v[215:216], s[20:21]
	v_add_f64 v[58:59], v[58:59], v[52:53]
	v_mul_f64 v[52:53], v[142:143], s[18:19]
	v_add_f64 v[86:87], v[86:87], -v[130:131]
	s_waitcnt vmcnt(0)
	v_add_f64 v[52:53], v[76:77], v[52:53]
	buffer_load_dword v76, off, s[64:67], 0 offset:676 ; 4-byte Folded Reload
	buffer_load_dword v77, off, s[64:67], 0 offset:680 ; 4-byte Folded Reload
	s_waitcnt vmcnt(0)
	v_add_f64 v[88:89], v[76:77], v[88:89]
	buffer_load_dword v76, off, s[64:67], 0 offset:452 ; 4-byte Folded Reload
	buffer_load_dword v77, off, s[64:67], 0 offset:456 ; 4-byte Folded Reload
	v_add_f64 v[88:89], v[10:11], v[88:89]
	s_waitcnt vmcnt(0)
	v_add_f64 v[92:93], v[76:77], v[92:93]
	buffer_load_dword v76, off, s[64:67], 0 offset:460 ; 4-byte Folded Reload
	buffer_load_dword v77, off, s[64:67], 0 offset:464 ; 4-byte Folded Reload
	v_add_f64 v[88:89], v[92:93], v[88:89]
	v_mul_f64 v[92:93], v[154:155], s[4:5]
	v_add_f64 v[52:53], v[52:53], v[88:89]
	v_mul_f64 v[88:89], v[172:173], s[6:7]
	s_waitcnt vmcnt(0)
	v_add_f64 v[92:93], v[76:77], v[92:93]
	buffer_load_dword v76, off, s[64:67], 0 offset:476 ; 4-byte Folded Reload
	buffer_load_dword v77, off, s[64:67], 0 offset:480 ; 4-byte Folded Reload
	;; [unrolled: 1-line block ×4, first 2 shown]
	v_add_f64 v[52:53], v[92:93], v[52:53]
	s_waitcnt vmcnt(2)
	v_add_f64 v[76:77], v[76:77], v[88:89]
	v_mul_f64 v[88:89], v[190:191], s[22:23]
	v_add_f64 v[52:53], v[76:77], v[52:53]
	s_waitcnt vmcnt(0)
	v_add_f64 v[78:79], v[78:79], v[88:89]
	buffer_load_dword v88, off, s[64:67], 0 offset:508 ; 4-byte Folded Reload
	buffer_load_dword v89, off, s[64:67], 0 offset:512 ; 4-byte Folded Reload
	v_mul_f64 v[76:77], v[203:204], s[20:21]
	v_add_f64 v[52:53], v[78:79], v[52:53]
	v_mul_f64 v[78:79], v[217:218], s[16:17]
	v_add_f64 v[78:79], v[80:81], v[78:79]
	buffer_load_dword v80, off, s[64:67], 0 offset:660 ; 4-byte Folded Reload
	buffer_load_dword v81, off, s[64:67], 0 offset:664 ; 4-byte Folded Reload
	s_waitcnt vmcnt(2)
	v_add_f64 v[76:77], v[88:89], v[76:77]
	buffer_load_dword v88, off, s[64:67], 0 offset:36 ; 4-byte Folded Reload
	buffer_load_dword v89, off, s[64:67], 0 offset:40 ; 4-byte Folded Reload
	buffer_load_dword v90, off, s[64:67], 0 offset:644 ; 4-byte Folded Reload
	buffer_load_dword v91, off, s[64:67], 0 offset:648 ; 4-byte Folded Reload
	v_add_f64 v[52:53], v[76:77], v[52:53]
	v_mul_f64 v[76:77], v[138:139], s[18:19]
	v_add_f64 v[52:53], v[78:79], v[52:53]
	s_waitcnt vmcnt(4)
	v_add_f64 v[76:77], v[76:77], -v[80:81]
	v_mul_f64 v[80:81], v[82:83], s[10:11]
	s_waitcnt vmcnt(2)
	v_add_f64 v[80:81], v[80:81], -v[88:89]
	v_mul_f64 v[88:89], v[120:121], s[24:25]
	v_add_f64 v[80:81], v[8:9], v[80:81]
	s_waitcnt vmcnt(0)
	v_add_f64 v[88:89], v[88:89], -v[90:91]
	buffer_load_dword v90, off, s[64:67], 0 offset:652 ; 4-byte Folded Reload
	buffer_load_dword v91, off, s[64:67], 0 offset:656 ; 4-byte Folded Reload
	v_add_f64 v[80:81], v[88:89], v[80:81]
	v_mul_f64 v[88:89], v[152:153], s[4:5]
	v_add_f64 v[76:77], v[76:77], v[80:81]
	v_mul_f64 v[80:81], v[168:169], s[6:7]
	s_waitcnt vmcnt(0)
	v_add_f64 v[88:89], v[88:89], -v[90:91]
	buffer_load_dword v90, off, s[64:67], 0 offset:436 ; 4-byte Folded Reload
	buffer_load_dword v91, off, s[64:67], 0 offset:440 ; 4-byte Folded Reload
	v_add_f64 v[76:77], v[88:89], v[76:77]
	v_mul_f64 v[88:89], v[84:85], s[6:7]
	s_waitcnt vmcnt(0)
	v_add_f64 v[80:81], v[80:81], -v[90:91]
	buffer_load_dword v90, off, s[64:67], 0 offset:668 ; 4-byte Folded Reload
	buffer_load_dword v91, off, s[64:67], 0 offset:672 ; 4-byte Folded Reload
	;; [unrolled: 1-line block ×6, first 2 shown]
	v_add_f64 v[76:77], v[80:81], v[76:77]
	v_mul_f64 v[80:81], v[142:143], s[24:25]
	s_waitcnt vmcnt(4)
	v_add_f64 v[88:89], v[90:91], v[88:89]
	v_mul_f64 v[90:91], v[188:189], s[22:23]
	v_add_f64 v[88:89], v[10:11], v[88:89]
	s_waitcnt vmcnt(2)
	v_add_f64 v[90:91], v[90:91], -v[92:93]
	v_mul_f64 v[92:93], v[122:123], s[20:21]
	v_add_f64 v[76:77], v[90:91], v[76:77]
	s_waitcnt vmcnt(0)
	v_add_f64 v[92:93], v[94:95], v[92:93]
	buffer_load_dword v94, off, s[64:67], 0 offset:236 ; 4-byte Folded Reload
	buffer_load_dword v95, off, s[64:67], 0 offset:240 ; 4-byte Folded Reload
	;; [unrolled: 1-line block ×18, first 2 shown]
	v_add_f64 v[88:89], v[92:93], v[88:89]
	v_mul_f64 v[92:93], v[154:155], s[18:19]
	buffer_load_dword v132, off, s[64:67], 0 offset:620 ; 4-byte Folded Reload
	buffer_load_dword v133, off, s[64:67], 0 offset:624 ; 4-byte Folded Reload
	v_mul_f64 v[90:91], v[84:85], s[4:5]
	v_mul_f64 v[84:85], v[84:85], s[16:17]
	s_waitcnt vmcnt(18)
	v_add_f64 v[80:81], v[94:95], v[80:81]
	v_mul_f64 v[94:95], v[201:202], s[20:21]
	s_waitcnt vmcnt(14)
	v_add_f64 v[92:93], v[114:115], v[92:93]
	v_mul_f64 v[114:115], v[172:173], s[16:17]
	v_add_f64 v[80:81], v[80:81], v[88:89]
	v_add_f64 v[94:95], v[94:95], -v[112:113]
	v_mul_f64 v[88:89], v[82:83], s[4:5]
	v_mul_f64 v[112:113], v[215:216], s[16:17]
	s_waitcnt vmcnt(10)
	v_add_f64 v[114:115], v[118:119], v[114:115]
	v_mul_f64 v[118:119], v[190:191], s[4:5]
	s_waitcnt vmcnt(0)
	v_add_f64 v[84:85], v[132:133], v[84:85]
	v_mul_f64 v[132:133], v[142:143], s[6:7]
	v_add_f64 v[80:81], v[92:93], v[80:81]
	v_mul_f64 v[92:93], v[82:83], s[16:17]
	v_mul_f64 v[82:83], v[82:83], s[6:7]
	v_add_f64 v[76:77], v[94:95], v[76:77]
	v_mul_f64 v[94:95], v[152:153], s[18:19]
	v_add_f64 v[112:113], v[112:113], -v[116:117]
	v_mul_f64 v[116:117], v[203:204], s[10:11]
	v_add_f64 v[118:119], v[126:127], v[118:119]
	v_mul_f64 v[126:127], v[122:123], s[16:17]
	v_add_f64 v[80:81], v[114:115], v[80:81]
	v_add_f64 v[82:83], v[82:83], -v[130:131]
	v_mul_f64 v[130:131], v[138:139], s[24:25]
	v_add_f64 v[94:95], v[94:95], -v[128:129]
	v_mul_f64 v[128:129], v[138:139], s[6:7]
	buffer_load_dword v138, off, s[64:67], 0 offset:68 ; 4-byte Folded Reload
	buffer_load_dword v139, off, s[64:67], 0 offset:72 ; 4-byte Folded Reload
	;; [unrolled: 1-line block ×8, first 2 shown]
	v_add_f64 v[116:117], v[124:125], v[116:117]
	v_mul_f64 v[124:125], v[120:121], s[16:17]
	v_mul_f64 v[114:115], v[120:121], s[10:11]
	;; [unrolled: 1-line block ×5, first 2 shown]
	v_add_f64 v[80:81], v[118:119], v[80:81]
	v_add_f64 v[82:83], v[8:9], v[82:83]
	v_mul_f64 v[118:119], v[217:218], s[22:23]
	v_add_f64 v[84:85], v[10:11], v[84:85]
	v_add_f64 v[80:81], v[116:117], v[80:81]
	s_waitcnt vmcnt(6)
	v_add_f64 v[120:121], v[120:121], -v[138:139]
	s_waitcnt vmcnt(4)
	v_add_f64 v[130:131], v[130:131], -v[140:141]
	v_mul_f64 v[140:141], v[154:155], s[10:11]
	buffer_load_dword v154, off, s[64:67], 0 offset:228 ; 4-byte Folded Reload
	buffer_load_dword v155, off, s[64:67], 0 offset:232 ; 4-byte Folded Reload
	;; [unrolled: 1-line block ×4, first 2 shown]
	v_mul_f64 v[138:139], v[152:153], s[10:11]
	s_waitcnt vmcnt(6)
	v_add_f64 v[122:123], v[146:147], v[122:123]
	v_mul_f64 v[146:147], v[168:169], s[18:19]
	s_waitcnt vmcnt(4)
	v_add_f64 v[136:137], v[148:149], v[136:137]
	v_mul_f64 v[148:149], v[168:169], s[22:23]
	v_mul_f64 v[152:153], v[168:169], s[16:17]
	buffer_load_dword v166, off, s[64:67], 0 offset:276 ; 4-byte Folded Reload
	buffer_load_dword v167, off, s[64:67], 0 offset:280 ; 4-byte Folded Reload
	;; [unrolled: 1-line block ×12, first 2 shown]
	v_add_f64 v[82:83], v[120:121], v[82:83]
	v_mul_f64 v[120:121], v[172:173], s[18:19]
	v_mul_f64 v[172:173], v[215:216], s[22:23]
	v_add_f64 v[84:85], v[122:123], v[84:85]
	v_mul_f64 v[122:123], v[188:189], s[20:21]
	v_add_f64 v[82:83], v[130:131], v[82:83]
	;; [unrolled: 2-line block ×4, first 2 shown]
	v_mul_f64 v[94:95], v[201:202], s[6:7]
	s_waitcnt vmcnt(14)
	v_add_f64 v[144:145], v[154:155], v[144:145]
	s_waitcnt vmcnt(12)
	v_add_f64 v[152:153], v[152:153], -v[160:161]
	v_mul_f64 v[154:155], v[188:189], s[18:19]
	v_mul_f64 v[160:161], v[203:204], s[22:23]
	v_add_f64 v[84:85], v[144:145], v[84:85]
	v_add_f64 v[82:83], v[152:153], v[82:83]
	s_waitcnt vmcnt(6)
	v_add_f64 v[56:57], v[56:57], v[118:119]
	s_waitcnt vmcnt(4)
	v_add_f64 v[78:79], v[158:159], -v[78:79]
	v_add_f64 v[156:157], v[168:169], v[156:157]
	s_waitcnt vmcnt(0)
	v_add_f64 v[54:55], v[172:173], -v[14:15]
	buffer_load_dword v14, off, s[64:67], 0 offset:364 ; 4-byte Folded Reload
	buffer_load_dword v15, off, s[64:67], 0 offset:368 ; 4-byte Folded Reload
	v_mul_f64 v[168:169], v[215:216], s[4:5]
	v_mul_f64 v[144:145], v[217:218], s[24:25]
	v_add_f64 v[150:151], v[166:167], v[150:151]
	v_mul_f64 v[166:167], v[215:216], s[24:25]
	v_add_f64 v[78:79], v[78:79], v[82:83]
	buffer_load_dword v82, off, s[64:67], 0 offset:396 ; 4-byte Folded Reload
	buffer_load_dword v83, off, s[64:67], 0 offset:400 ; 4-byte Folded Reload
	;; [unrolled: 1-line block ×8, first 2 shown]
	v_add_f64 v[116:117], v[116:117], v[162:163]
	v_add_f64 v[84:85], v[150:151], v[84:85]
	;; [unrolled: 1-line block ×4, first 2 shown]
	s_waitcnt vmcnt(8)
	v_add_f64 v[14:15], v[164:165], -v[14:15]
	s_waitcnt vmcnt(6)
	v_add_f64 v[82:83], v[82:83], v[170:171]
	s_waitcnt vmcnt(4)
	v_add_f64 v[90:91], v[118:119], v[90:91]
	s_waitcnt vmcnt(2)
	v_add_f64 v[16:17], v[88:89], -v[16:17]
	s_waitcnt vmcnt(0)
	v_add_f64 v[18:19], v[92:93], -v[18:19]
	buffer_load_dword v88, off, s[64:67], 0 offset:612 ; 4-byte Folded Reload
	buffer_load_dword v89, off, s[64:67], 0 offset:616 ; 4-byte Folded Reload
	;; [unrolled: 1-line block ×4, first 2 shown]
	v_add_f64 v[10:11], v[10:11], v[90:91]
	buffer_load_dword v90, off, s[64:67], 0 offset:588 ; 4-byte Folded Reload
	buffer_load_dword v91, off, s[64:67], 0 offset:592 ; 4-byte Folded Reload
	v_add_f64 v[16:17], v[8:9], v[16:17]
	v_add_f64 v[8:9], v[8:9], v[18:19]
	buffer_load_dword v18, off, s[64:67], 0 offset:100 ; 4-byte Folded Reload
	buffer_load_dword v19, off, s[64:67], 0 offset:104 ; 4-byte Folded Reload
	;; [unrolled: 1-line block ×10, first 2 shown]
	s_waitcnt vmcnt(14)
	v_add_f64 v[88:89], v[114:115], -v[88:89]
	s_waitcnt vmcnt(12)
	v_add_f64 v[92:93], v[92:93], v[126:127]
	s_waitcnt vmcnt(10)
	v_add_f64 v[90:91], v[124:125], -v[90:91]
	v_add_f64 v[8:9], v[88:89], v[8:9]
	v_add_f64 v[10:11], v[92:93], v[10:11]
	s_waitcnt vmcnt(6)
	v_add_f64 v[20:21], v[20:21], v[132:133]
	v_add_f64 v[18:19], v[134:135], -v[18:19]
	s_waitcnt vmcnt(4)
	v_add_f64 v[22:23], v[128:129], -v[22:23]
	s_waitcnt vmcnt(2)
	v_add_f64 v[24:25], v[142:143], -v[24:25]
	v_add_f64 v[16:17], v[90:91], v[16:17]
	s_waitcnt vmcnt(0)
	v_add_f64 v[26:27], v[26:27], v[140:141]
	v_add_f64 v[10:11], v[20:21], v[10:11]
	buffer_load_dword v20, off, s[64:67], 0 offset:132 ; 4-byte Folded Reload
	buffer_load_dword v21, off, s[64:67], 0 offset:136 ; 4-byte Folded Reload
	v_add_f64 v[8:9], v[18:19], v[8:9]
	buffer_load_dword v18, off, s[64:67], 0 offset:220 ; 4-byte Folded Reload
	buffer_load_dword v19, off, s[64:67], 0 offset:224 ; 4-byte Folded Reload
	;; [unrolled: 3-line block ×4, first 2 shown]
	v_add_f64 v[8:9], v[24:25], v[8:9]
	s_waitcnt vmcnt(6)
	v_add_f64 v[20:21], v[138:139], -v[20:21]
	s_waitcnt vmcnt(4)
	v_add_f64 v[18:19], v[148:149], -v[18:19]
	s_waitcnt vmcnt(2)
	v_add_f64 v[22:23], v[22:23], v[120:121]
	v_add_f64 v[16:17], v[20:21], v[16:17]
	buffer_load_dword v20, off, s[64:67], 0 offset:268 ; 4-byte Folded Reload
	buffer_load_dword v21, off, s[64:67], 0 offset:272 ; 4-byte Folded Reload
	;; [unrolled: 1-line block ×4, first 2 shown]
	s_waitcnt vmcnt(4)
	v_add_f64 v[26:27], v[146:147], -v[26:27]
	v_add_f64 v[10:11], v[22:23], v[10:11]
	v_add_f64 v[8:9], v[18:19], v[8:9]
	buffer_load_dword v22, off, s[64:67], 0 offset:252 ; 4-byte Folded Reload
	buffer_load_dword v23, off, s[64:67], 0 offset:256 ; 4-byte Folded Reload
	;; [unrolled: 1-line block ×4, first 2 shown]
	v_add_f64 v[16:17], v[26:27], v[16:17]
	buffer_load_dword v26, off, s[64:67], 0 offset:308 ; 4-byte Folded Reload
	buffer_load_dword v27, off, s[64:67], 0 offset:312 ; 4-byte Folded Reload
	s_waitcnt vmcnt(8)
	v_add_f64 v[20:21], v[154:155], -v[20:21]
	s_waitcnt vmcnt(6)
	v_add_f64 v[24:25], v[24:25], v[130:131]
	s_waitcnt vmcnt(4)
	v_add_f64 v[22:23], v[122:123], -v[22:23]
	s_waitcnt vmcnt(2)
	v_add_f64 v[18:19], v[94:95], -v[18:19]
	v_add_f64 v[8:9], v[20:21], v[8:9]
	v_add_f64 v[10:11], v[24:25], v[10:11]
	buffer_load_dword v24, off, s[64:67], 0 offset:300 ; 4-byte Folded Reload
	buffer_load_dword v25, off, s[64:67], 0 offset:304 ; 4-byte Folded Reload
	;; [unrolled: 1-line block ×4, first 2 shown]
	s_waitcnt vmcnt(4)
	v_add_f64 v[26:27], v[26:27], v[160:161]
	v_add_f64 v[16:17], v[22:23], v[16:17]
	;; [unrolled: 1-line block ×4, first 2 shown]
	s_waitcnt vmcnt(2)
	v_add_f64 v[24:25], v[136:137], -v[24:25]
	s_waitcnt vmcnt(0)
	v_add_f64 v[28:29], v[168:169], -v[20:21]
	buffer_load_dword v20, off, s[64:67], 0 offset:356 ; 4-byte Folded Reload
	buffer_load_dword v21, off, s[64:67], 0 offset:360 ; 4-byte Folded Reload
	;; [unrolled: 1-line block ×4, first 2 shown]
	v_add_f64 v[16:17], v[24:25], v[16:17]
	v_add_f64 v[24:25], v[14:15], v[78:79]
	;; [unrolled: 1-line block ×3, first 2 shown]
	s_waitcnt vmcnt(2)
	v_add_f64 v[20:21], v[20:21], v[144:145]
	s_waitcnt vmcnt(0)
	v_add_f64 v[26:27], v[166:167], -v[10:11]
	v_add_f64 v[10:11], v[56:57], v[80:81]
	v_add_f64 v[18:19], v[20:21], v[22:23]
	;; [unrolled: 1-line block ×5, first 2 shown]
	buffer_load_dword v24, off, s[64:67], 0 ; 4-byte Folded Reload
	buffer_load_dword v25, off, s[64:67], 0 offset:4 ; 4-byte Folded Reload
	v_add_f64 v[22:23], v[4:5], v[50:51]
	v_add_f64 v[16:17], v[26:27], v[16:17]
	;; [unrolled: 1-line block ×4, first 2 shown]
	s_waitcnt vmcnt(1)
	v_mul_lo_u16_e32 v24, 17, v24
	s_waitcnt vmcnt(0)
	v_add_lshl_u32 v24, v25, v24, 4
	ds_write_b128 v24, v[20:23]
	ds_write_b128 v24, v[16:19] offset:16
	ds_write_b128 v24, v[12:15] offset:32
	;; [unrolled: 1-line block ×16, first 2 shown]
.LBB0_7:
	s_or_b64 exec, exec, s[28:29]
	s_load_dwordx4 s[4:7], s[2:3], 0x0
	s_waitcnt lgkmcnt(0)
	s_barrier
	buffer_load_dword v28, off, s[64:67], 0 ; 4-byte Folded Reload
	s_movk_i32 s2, 0xf1
	v_mov_b32_e32 v2, 10
	s_mov_b32 s28, 0xf8bb580b
	s_mov_b32 s16, 0x43842ef
	;; [unrolled: 1-line block ×24, first 2 shown]
	s_waitcnt vmcnt(0)
	v_mul_lo_u16_sdwa v0, v28, s2 dst_sel:DWORD dst_unused:UNUSED_PAD src0_sel:BYTE_0 src1_sel:DWORD
	v_lshrrev_b16_e32 v0, 12, v0
	v_mul_lo_u16_e32 v1, 17, v0
	v_sub_u16_e32 v1, v28, v1
	v_mul_u32_u24_sdwa v2, v1, v2 dst_sel:DWORD dst_unused:UNUSED_PAD src0_sel:BYTE_0 src1_sel:DWORD
	v_lshlrev_b32_e32 v2, 4, v2
	global_load_dwordx4 v[24:27], v2, s[8:9]
	global_load_dwordx4 v[138:141], v2, s[8:9] offset:16
	global_load_dwordx4 v[50:53], v2, s[8:9] offset:32
	;; [unrolled: 1-line block ×9, first 2 shown]
	buffer_load_dword v29, off, s[64:67], 0 offset:4 ; 4-byte Folded Reload
	s_mov_b32 s2, 0xd9c712b6
	s_mov_b32 s3, 0x3fda9628
	v_mul_u32_u24_e32 v0, 0xbb, v0
	v_add_u32_sdwa v0, v0, v1 dst_sel:DWORD dst_unused:UNUSED_PAD src0_sel:DWORD src1_sel:BYTE_0
	s_waitcnt vmcnt(0)
	v_add_lshl_u32 v255, v29, v28, 4
	ds_read_b128 v[2:5], v255
	ds_read_b128 v[6:9], v255 offset:1360
	ds_read_b128 v[10:13], v255 offset:2720
	;; [unrolled: 1-line block ×10, first 2 shown]
	s_waitcnt lgkmcnt(9)
	v_mul_f64 v[22:23], v[8:9], v[26:27]
	s_waitcnt lgkmcnt(8)
	v_mul_f64 v[86:87], v[12:13], v[140:141]
	;; [unrolled: 2-line block ×3, first 2 shown]
	v_mul_f64 v[84:85], v[6:7], v[26:27]
	v_mul_f64 v[88:89], v[10:11], v[140:141]
	v_mul_f64 v[116:117], v[60:61], v[144:145]
	s_waitcnt lgkmcnt(4)
	v_mul_f64 v[118:119], v[66:67], v[58:59]
	v_mul_f64 v[120:121], v[64:65], v[58:59]
	v_fma_f64 v[6:7], v[6:7], v[24:25], -v[22:23]
	buffer_store_dword v24, off, s[64:67], 0 offset:116 ; 4-byte Folded Spill
	s_nop 0
	buffer_store_dword v25, off, s[64:67], 0 offset:120 ; 4-byte Folded Spill
	buffer_store_dword v26, off, s[64:67], 0 offset:124 ; 4-byte Folded Spill
	buffer_store_dword v27, off, s[64:67], 0 offset:128 ; 4-byte Folded Spill
	v_fma_f64 v[10:11], v[10:11], v[138:139], -v[86:87]
	buffer_store_dword v138, off, s[64:67], 0 offset:84 ; 4-byte Folded Spill
	s_nop 0
	buffer_store_dword v139, off, s[64:67], 0 offset:88 ; 4-byte Folded Spill
	buffer_store_dword v140, off, s[64:67], 0 offset:92 ; 4-byte Folded Spill
	buffer_store_dword v141, off, s[64:67], 0 offset:96 ; 4-byte Folded Spill
	;; [unrolled: 6-line block ×3, first 2 shown]
	s_waitcnt lgkmcnt(3)
	v_mul_f64 v[122:123], v[70:71], v[36:37]
	v_mul_f64 v[124:125], v[68:69], v[36:37]
	s_waitcnt lgkmcnt(0)
	v_mul_f64 v[134:135], v[82:83], v[44:45]
	v_mul_f64 v[126:127], v[74:75], v[32:33]
	;; [unrolled: 1-line block ×9, first 2 shown]
	v_fma_f64 v[72:73], v[72:73], v[30:31], -v[126:127]
	v_fma_f64 v[76:77], v[76:77], v[38:39], -v[130:131]
	v_mul_f64 v[112:113], v[18:19], v[48:49]
	v_add_lshl_u32 v192, v29, v0, 4
	v_fma_f64 v[14:15], v[14:15], v[50:51], -v[90:91]
	v_fma_f64 v[18:19], v[18:19], v[46:47], -v[94:95]
	v_fma_f64 v[16:17], v[16:17], v[50:51], v[92:93]
	v_add_f64 v[90:91], v[10:11], v[76:77]
	v_add_f64 v[94:95], v[10:11], -v[76:77]
	v_fma_f64 v[20:21], v[20:21], v[46:47], v[112:113]
	v_fma_f64 v[8:9], v[8:9], v[24:25], v[84:85]
	;; [unrolled: 1-line block ×4, first 2 shown]
	v_fma_f64 v[62:63], v[64:65], v[56:57], -v[118:119]
	v_fma_f64 v[64:65], v[66:67], v[56:57], v[120:121]
	v_fma_f64 v[66:67], v[68:69], v[34:35], -v[122:123]
	buffer_store_dword v34, off, s[64:67], 0 offset:36 ; 4-byte Folded Spill
	s_nop 0
	buffer_store_dword v35, off, s[64:67], 0 offset:40 ; 4-byte Folded Spill
	buffer_store_dword v36, off, s[64:67], 0 offset:44 ; 4-byte Folded Spill
	;; [unrolled: 1-line block ×3, first 2 shown]
	v_add_f64 v[84:85], v[4:5], v[8:9]
	v_fma_f64 v[68:69], v[70:71], v[34:35], v[124:125]
	v_fma_f64 v[70:71], v[80:81], v[42:43], -v[134:135]
	buffer_store_dword v42, off, s[64:67], 0 offset:68 ; 4-byte Folded Spill
	s_nop 0
	buffer_store_dword v43, off, s[64:67], 0 offset:72 ; 4-byte Folded Spill
	buffer_store_dword v44, off, s[64:67], 0 offset:76 ; 4-byte Folded Spill
	buffer_store_dword v45, off, s[64:67], 0 offset:80 ; 4-byte Folded Spill
	buffer_store_dword v30, off, s[64:67], 0 offset:20 ; 4-byte Folded Spill
	s_nop 0
	buffer_store_dword v31, off, s[64:67], 0 offset:24 ; 4-byte Folded Spill
	buffer_store_dword v32, off, s[64:67], 0 offset:28 ; 4-byte Folded Spill
	buffer_store_dword v33, off, s[64:67], 0 offset:32 ; 4-byte Folded Spill
	buffer_store_dword v38, off, s[64:67], 0 offset:52 ; 4-byte Folded Spill
	s_nop 0
	buffer_store_dword v39, off, s[64:67], 0 offset:56 ; 4-byte Folded Spill
	buffer_store_dword v40, off, s[64:67], 0 offset:60 ; 4-byte Folded Spill
	buffer_store_dword v41, off, s[64:67], 0 offset:64 ; 4-byte Folded Spill
	s_waitcnt vmcnt(0)
	s_barrier
	v_add_f64 v[86:87], v[6:7], v[70:71]
	v_fma_f64 v[80:81], v[82:83], v[42:43], v[136:137]
	v_add_f64 v[82:83], v[2:3], v[6:7]
	v_fma_f64 v[78:79], v[78:79], v[38:39], v[132:133]
	v_add_f64 v[6:7], v[6:7], -v[70:71]
	v_fma_f64 v[74:75], v[74:75], v[30:31], v[128:129]
	v_mul_f64 v[128:129], v[94:95], s[18:19]
	v_add_f64 v[88:89], v[8:9], v[80:81]
	v_add_f64 v[10:11], v[82:83], v[10:11]
	;; [unrolled: 1-line block ×3, first 2 shown]
	v_add_f64 v[112:113], v[12:13], -v[78:79]
	v_add_f64 v[12:13], v[84:85], v[12:13]
	v_add_f64 v[8:9], v[8:9], -v[80:81]
	v_mul_f64 v[84:85], v[6:7], s[28:29]
	v_mul_f64 v[116:117], v[6:7], s[18:19]
	;; [unrolled: 1-line block ×3, first 2 shown]
	v_add_f64 v[10:11], v[10:11], v[14:15]
	v_mul_f64 v[124:125], v[6:7], s[24:25]
	v_mul_f64 v[6:7], v[6:7], s[30:31]
	v_add_f64 v[12:13], v[12:13], v[16:17]
	v_mul_f64 v[82:83], v[8:9], s[28:29]
	v_mul_f64 v[114:115], v[8:9], s[18:19]
	v_mul_f64 v[118:119], v[8:9], s[16:17]
	v_mul_f64 v[122:123], v[8:9], s[24:25]
	v_add_f64 v[10:11], v[10:11], v[18:19]
	v_mul_f64 v[8:9], v[8:9], s[30:31]
	v_fma_f64 v[134:135], v[88:89], s[20:21], v[84:85]
	v_add_f64 v[12:13], v[12:13], v[20:21]
	v_fma_f64 v[84:85], v[88:89], s[20:21], -v[84:85]
	v_fma_f64 v[138:139], v[88:89], s[2:3], v[116:117]
	v_fma_f64 v[116:117], v[88:89], s[2:3], -v[116:117]
	v_fma_f64 v[142:143], v[88:89], s[10:11], v[120:121]
	v_add_f64 v[10:11], v[10:11], v[22:23]
	v_fma_f64 v[120:121], v[88:89], s[10:11], -v[120:121]
	v_fma_f64 v[146:147], v[88:89], s[22:23], v[124:125]
	v_add_f64 v[12:13], v[12:13], v[60:61]
	v_fma_f64 v[124:125], v[88:89], s[22:23], -v[124:125]
	v_fma_f64 v[150:151], v[88:89], s[26:27], v[6:7]
	v_fma_f64 v[88:89], v[88:89], s[26:27], -v[6:7]
	v_fma_f64 v[132:133], v[86:87], s[20:21], -v[82:83]
	v_add_f64 v[10:11], v[10:11], v[62:63]
	v_fma_f64 v[82:83], v[86:87], s[20:21], v[82:83]
	v_fma_f64 v[136:137], v[86:87], s[2:3], -v[114:115]
	v_add_f64 v[12:13], v[12:13], v[64:65]
	v_fma_f64 v[114:115], v[86:87], s[2:3], v[114:115]
	v_fma_f64 v[140:141], v[86:87], s[10:11], -v[118:119]
	v_fma_f64 v[118:119], v[86:87], s[10:11], v[118:119]
	v_fma_f64 v[144:145], v[86:87], s[22:23], -v[122:123]
	v_add_f64 v[6:7], v[10:11], v[66:67]
	v_fma_f64 v[122:123], v[86:87], s[22:23], v[122:123]
	v_fma_f64 v[148:149], v[86:87], s[26:27], -v[8:9]
	v_fma_f64 v[86:87], v[86:87], s[26:27], v[8:9]
	v_add_f64 v[8:9], v[12:13], v[68:69]
	v_mul_f64 v[126:127], v[112:113], s[18:19]
	v_mul_f64 v[130:131], v[112:113], s[24:25]
	v_fma_f64 v[154:155], v[92:93], s[2:3], v[128:129]
	v_add_f64 v[6:7], v[6:7], v[72:73]
	v_add_f64 v[84:85], v[4:5], v[84:85]
	;; [unrolled: 1-line block ×5, first 2 shown]
	v_fma_f64 v[152:153], v[90:91], s[2:3], -v[126:127]
	v_fma_f64 v[126:127], v[90:91], s[2:3], v[126:127]
	v_add_f64 v[82:83], v[2:3], v[82:83]
	v_add_f64 v[6:7], v[6:7], v[76:77]
	;; [unrolled: 1-line block ×10, first 2 shown]
	v_fma_f64 v[70:71], v[92:93], s[2:3], -v[128:129]
	v_mul_f64 v[128:129], v[94:95], s[24:25]
	v_add_f64 v[118:119], v[2:3], v[118:119]
	v_add_f64 v[120:121], v[4:5], v[120:121]
	;; [unrolled: 1-line block ×9, first 2 shown]
	v_fma_f64 v[80:81], v[90:91], s[22:23], -v[130:131]
	v_add_f64 v[2:3], v[2:3], v[86:87]
	v_add_f64 v[4:5], v[4:5], v[88:89]
	;; [unrolled: 1-line block ×3, first 2 shown]
	v_fma_f64 v[84:85], v[92:93], s[22:23], v[128:129]
	v_mul_f64 v[86:87], v[112:113], s[38:39]
	v_mul_f64 v[88:89], v[94:95], s[38:39]
	v_add_f64 v[82:83], v[126:127], v[82:83]
	v_add_f64 v[80:81], v[80:81], v[132:133]
	v_mul_f64 v[126:127], v[112:113], s[36:37]
	v_mul_f64 v[146:147], v[94:95], s[36:37]
	v_fma_f64 v[130:131], v[90:91], s[22:23], v[130:131]
	v_add_f64 v[84:85], v[84:85], v[134:135]
	v_fma_f64 v[132:133], v[90:91], s[26:27], -v[86:87]
	v_fma_f64 v[134:135], v[92:93], s[26:27], v[88:89]
	v_fma_f64 v[86:87], v[90:91], s[26:27], v[86:87]
	v_fma_f64 v[88:89], v[92:93], s[26:27], -v[88:89]
	v_fma_f64 v[128:129], v[92:93], s[22:23], -v[128:129]
	v_mul_f64 v[112:113], v[112:113], s[34:35]
	v_mul_f64 v[94:95], v[94:95], s[34:35]
	v_fma_f64 v[144:145], v[90:91], s[10:11], -v[126:127]
	v_add_f64 v[114:115], v[130:131], v[114:115]
	v_add_f64 v[130:131], v[134:135], v[138:139]
	v_add_f64 v[86:87], v[86:87], v[118:119]
	v_add_f64 v[88:89], v[88:89], v[120:121]
	v_fma_f64 v[118:119], v[92:93], s[10:11], v[146:147]
	v_fma_f64 v[120:121], v[90:91], s[10:11], v[126:127]
	v_add_f64 v[116:117], v[128:129], v[116:117]
	v_add_f64 v[128:129], v[132:133], v[136:137]
	v_add_f64 v[126:127], v[16:17], -v[74:75]
	v_fma_f64 v[132:133], v[92:93], s[10:11], -v[146:147]
	v_fma_f64 v[134:135], v[92:93], s[20:21], v[94:95]
	v_add_f64 v[16:17], v[16:17], v[74:75]
	v_add_f64 v[78:79], v[118:119], v[78:79]
	v_add_f64 v[118:119], v[14:15], -v[72:73]
	v_add_f64 v[120:121], v[120:121], v[122:123]
	v_fma_f64 v[122:123], v[90:91], s[20:21], -v[112:113]
	v_add_f64 v[14:15], v[14:15], v[72:73]
	v_mul_f64 v[72:73], v[126:127], s[16:17]
	v_add_f64 v[124:125], v[132:133], v[124:125]
	v_fma_f64 v[90:91], v[90:91], s[20:21], v[112:113]
	v_fma_f64 v[92:93], v[92:93], s[20:21], -v[94:95]
	v_mul_f64 v[74:75], v[118:119], s[16:17]
	v_mul_f64 v[132:133], v[126:127], s[38:39]
	v_add_f64 v[112:113], v[122:123], v[140:141]
	v_add_f64 v[122:123], v[134:135], v[142:143]
	v_mul_f64 v[134:135], v[118:119], s[38:39]
	v_fma_f64 v[94:95], v[14:15], s[10:11], -v[72:73]
	v_add_f64 v[2:3], v[90:91], v[2:3]
	v_add_f64 v[4:5], v[92:93], v[4:5]
	v_fma_f64 v[136:137], v[16:17], s[10:11], v[74:75]
	v_fma_f64 v[72:73], v[14:15], s[10:11], v[72:73]
	v_fma_f64 v[74:75], v[16:17], s[10:11], -v[74:75]
	v_fma_f64 v[90:91], v[14:15], s[26:27], -v[132:133]
	v_fma_f64 v[92:93], v[16:17], s[26:27], v[134:135]
	v_add_f64 v[10:11], v[152:153], v[10:11]
	s_mov_b32 s19, 0x3fed1bb4
	v_add_f64 v[76:77], v[144:145], v[76:77]
	v_add_f64 v[12:13], v[154:155], v[12:13]
	;; [unrolled: 1-line block ×6, first 2 shown]
	v_fma_f64 v[82:83], v[14:15], s[26:27], v[132:133]
	v_fma_f64 v[84:85], v[16:17], s[26:27], -v[134:135]
	v_mul_f64 v[132:133], v[126:127], s[28:29]
	v_mul_f64 v[134:135], v[118:119], s[28:29]
	v_add_f64 v[10:11], v[94:95], v[10:11]
	v_mul_f64 v[94:95], v[126:127], s[18:19]
	v_add_f64 v[12:13], v[136:137], v[12:13]
	;; [unrolled: 2-line block ×3, first 2 shown]
	v_add_f64 v[84:85], v[84:85], v[116:117]
	v_fma_f64 v[114:115], v[14:15], s[20:21], -v[132:133]
	v_fma_f64 v[116:117], v[16:17], s[20:21], v[134:135]
	v_mul_f64 v[118:119], v[118:119], s[24:25]
	v_fma_f64 v[90:91], v[14:15], s[2:3], -v[94:95]
	v_fma_f64 v[94:95], v[14:15], s[2:3], v[94:95]
	v_fma_f64 v[92:93], v[16:17], s[2:3], v[136:137]
	v_fma_f64 v[136:137], v[16:17], s[2:3], -v[136:137]
	v_add_f64 v[76:77], v[114:115], v[76:77]
	v_add_f64 v[78:79], v[116:117], v[78:79]
	v_add_f64 v[114:115], v[20:21], -v[68:69]
	v_add_f64 v[116:117], v[18:19], -v[66:67]
	v_add_f64 v[90:91], v[90:91], v[128:129]
	v_add_f64 v[86:87], v[94:95], v[86:87]
	v_mul_f64 v[94:95], v[126:127], s[24:25]
	v_fma_f64 v[126:127], v[14:15], s[20:21], v[132:133]
	v_fma_f64 v[128:129], v[16:17], s[20:21], -v[134:135]
	v_add_f64 v[18:19], v[18:19], v[66:67]
	v_add_f64 v[20:21], v[20:21], v[68:69]
	v_mul_f64 v[66:67], v[114:115], s[24:25]
	v_mul_f64 v[68:69], v[116:117], s[24:25]
	v_add_f64 v[92:93], v[92:93], v[130:131]
	v_fma_f64 v[130:131], v[14:15], s[22:23], -v[94:95]
	v_add_f64 v[120:121], v[126:127], v[120:121]
	v_add_f64 v[124:125], v[128:129], v[124:125]
	v_fma_f64 v[14:15], v[14:15], s[22:23], v[94:95]
	v_mul_f64 v[94:95], v[114:115], s[36:37]
	v_fma_f64 v[126:127], v[18:19], s[22:23], -v[66:67]
	v_fma_f64 v[128:129], v[20:21], s[22:23], v[68:69]
	v_fma_f64 v[66:67], v[18:19], s[22:23], v[66:67]
	v_fma_f64 v[68:69], v[20:21], s[22:23], -v[68:69]
	v_add_f64 v[88:89], v[136:137], v[88:89]
	v_fma_f64 v[132:133], v[16:17], s[22:23], v[118:119]
	v_fma_f64 v[16:17], v[16:17], s[22:23], -v[118:119]
	v_mul_f64 v[118:119], v[116:117], s[36:37]
	v_add_f64 v[2:3], v[14:15], v[2:3]
	v_fma_f64 v[14:15], v[18:19], s[10:11], -v[94:95]
	v_add_f64 v[66:67], v[66:67], v[72:73]
	v_add_f64 v[68:69], v[68:69], v[70:71]
	v_mul_f64 v[70:71], v[114:115], s[28:29]
	v_mul_f64 v[72:73], v[116:117], s[28:29]
	v_add_f64 v[10:11], v[126:127], v[10:11]
	v_add_f64 v[12:13], v[128:129], v[12:13]
	v_fma_f64 v[94:95], v[18:19], s[10:11], v[94:95]
	v_add_f64 v[4:5], v[16:17], v[4:5]
	v_fma_f64 v[16:17], v[20:21], s[10:11], v[118:119]
	v_add_f64 v[14:15], v[14:15], v[74:75]
	v_fma_f64 v[126:127], v[18:19], s[20:21], -v[70:71]
	v_fma_f64 v[128:129], v[20:21], s[20:21], v[72:73]
	v_fma_f64 v[70:71], v[18:19], s[20:21], v[70:71]
	v_fma_f64 v[72:73], v[20:21], s[20:21], -v[72:73]
	v_mul_f64 v[74:75], v[114:115], s[30:31]
	v_fma_f64 v[118:119], v[20:21], s[10:11], -v[118:119]
	v_add_f64 v[82:83], v[94:95], v[82:83]
	v_mul_f64 v[94:95], v[114:115], s[18:19]
	v_mul_f64 v[114:115], v[116:117], s[18:19]
	v_add_f64 v[112:113], v[130:131], v[112:113]
	v_add_f64 v[70:71], v[70:71], v[86:87]
	;; [unrolled: 1-line block ×3, first 2 shown]
	v_add_f64 v[86:87], v[60:61], -v[64:65]
	v_add_f64 v[88:89], v[22:23], -v[62:63]
	v_add_f64 v[122:123], v[132:133], v[122:123]
	v_add_f64 v[16:17], v[16:17], v[80:81]
	v_mul_f64 v[80:81], v[116:117], s[30:31]
	v_fma_f64 v[130:131], v[18:19], s[26:27], -v[74:75]
	v_add_f64 v[84:85], v[118:119], v[84:85]
	v_fma_f64 v[74:75], v[18:19], s[26:27], v[74:75]
	v_add_f64 v[22:23], v[22:23], v[62:63]
	v_add_f64 v[64:65], v[60:61], v[64:65]
	v_mul_f64 v[60:61], v[86:87], s[30:31]
	v_mul_f64 v[62:63], v[88:89], s[30:31]
	v_fma_f64 v[116:117], v[18:19], s[2:3], -v[94:95]
	v_fma_f64 v[118:119], v[20:21], s[2:3], v[114:115]
	v_fma_f64 v[132:133], v[20:21], s[26:27], v[80:81]
	v_fma_f64 v[80:81], v[20:21], s[26:27], -v[80:81]
	v_add_f64 v[74:75], v[74:75], v[120:121]
	v_fma_f64 v[18:19], v[18:19], s[2:3], v[94:95]
	v_fma_f64 v[20:21], v[20:21], s[2:3], -v[114:115]
	v_fma_f64 v[94:95], v[22:23], s[26:27], -v[60:61]
	v_fma_f64 v[114:115], v[64:65], s[26:27], v[62:63]
	v_add_f64 v[112:113], v[116:117], v[112:113]
	v_add_f64 v[116:117], v[118:119], v[122:123]
	v_mul_f64 v[118:119], v[86:87], s[34:35]
	v_mul_f64 v[120:121], v[88:89], s[34:35]
	v_add_f64 v[80:81], v[80:81], v[124:125]
	v_add_f64 v[122:123], v[18:19], v[2:3]
	;; [unrolled: 1-line block ×5, first 2 shown]
	v_fma_f64 v[10:11], v[22:23], s[26:27], v[60:61]
	v_fma_f64 v[12:13], v[64:65], s[26:27], -v[62:63]
	v_fma_f64 v[18:19], v[22:23], s[20:21], -v[118:119]
	v_fma_f64 v[20:21], v[64:65], s[20:21], v[120:121]
	v_mul_f64 v[60:61], v[86:87], s[24:25]
	v_mul_f64 v[62:63], v[88:89], s[24:25]
	v_fma_f64 v[94:95], v[22:23], s[20:21], v[118:119]
	v_fma_f64 v[114:115], v[64:65], s[20:21], -v[120:121]
	v_add_f64 v[136:137], v[10:11], v[66:67]
	v_add_f64 v[138:139], v[12:13], v[68:69]
	;; [unrolled: 1-line block ×4, first 2 shown]
	v_fma_f64 v[18:19], v[22:23], s[22:23], -v[60:61]
	v_fma_f64 v[20:21], v[64:65], s[22:23], v[62:63]
	v_fma_f64 v[60:61], v[22:23], s[22:23], v[60:61]
	v_fma_f64 v[62:63], v[64:65], s[22:23], -v[62:63]
	v_mul_f64 v[66:67], v[86:87], s[18:19]
	v_mul_f64 v[68:69], v[88:89], s[18:19]
	v_add_f64 v[90:91], v[126:127], v[90:91]
	v_add_f64 v[92:93], v[128:129], v[92:93]
	;; [unrolled: 1-line block ×4, first 2 shown]
	v_mul_f64 v[82:83], v[86:87], s[16:17]
	v_mul_f64 v[84:85], v[88:89], s[16:17]
	v_add_f64 v[76:77], v[130:131], v[76:77]
	v_add_f64 v[78:79], v[132:133], v[78:79]
	;; [unrolled: 1-line block ×4, first 2 shown]
	v_fma_f64 v[70:71], v[22:23], s[2:3], -v[66:67]
	v_fma_f64 v[72:73], v[64:65], s[2:3], v[68:69]
	v_add_f64 v[18:19], v[18:19], v[90:91]
	v_add_f64 v[20:21], v[20:21], v[92:93]
	v_fma_f64 v[86:87], v[22:23], s[2:3], v[66:67]
	v_fma_f64 v[90:91], v[22:23], s[10:11], -v[82:83]
	v_fma_f64 v[92:93], v[64:65], s[10:11], v[84:85]
	v_fma_f64 v[22:23], v[22:23], s[10:11], v[82:83]
	v_fma_f64 v[82:83], v[64:65], s[10:11], -v[84:85]
	v_fma_f64 v[88:89], v[64:65], s[2:3], -v[68:69]
	v_add_f64 v[64:65], v[70:71], v[76:77]
	v_add_f64 v[66:67], v[72:73], v[78:79]
	;; [unrolled: 1-line block ×8, first 2 shown]
	ds_write_b128 v192, v[6:9]
	ds_write_b128 v192, v[2:5] offset:272
	ds_write_b128 v192, v[10:13] offset:544
	;; [unrolled: 1-line block ×10, first 2 shown]
	s_waitcnt lgkmcnt(0)
	s_barrier
	ds_read_b128 v[112:115], v255
	ds_read_b128 v[116:119], v255 offset:1360
	ds_read_b128 v[140:143], v255 offset:2992
	;; [unrolled: 1-line block ×9, first 2 shown]
	v_cmp_gt_u16_e64 s[2:3], 17, v28
	s_and_saveexec_b64 s[10:11], s[2:3]
	s_cbranch_execz .LBB0_9
; %bb.8:
	ds_read_b128 v[136:139], v255 offset:2720
	ds_read_b128 v[108:111], v255 offset:5712
	;; [unrolled: 1-line block ×5, first 2 shown]
.LBB0_9:
	s_or_b64 exec, exec, s[10:11]
	buffer_load_dword v28, off, s[64:67], 0 ; 4-byte Folded Reload
	s_mov_b32 s16, 0x134454ff
	s_mov_b32 s17, 0x3fee6f0e
	;; [unrolled: 1-line block ×5, first 2 shown]
	s_waitcnt vmcnt(0)
	v_add_co_u32_e32 v2, vcc, 0xaa, v28
	v_lshlrev_b32_e32 v0, 6, v28
	v_addc_co_u32_e64 v1, s[10:11], 0, 0, vcc
	global_load_dwordx4 v[68:71], v0, s[8:9] offset:2768
	global_load_dwordx4 v[72:75], v0, s[8:9] offset:2752
	;; [unrolled: 1-line block ×4, first 2 shown]
	v_add_u32_e32 v0, 0x1540, v0
	s_movk_i32 s10, 0xffef
	global_load_dwordx4 v[64:67], v0, s[8:9] offset:2768
	global_load_dwordx4 v[84:87], v0, s[8:9] offset:2752
	;; [unrolled: 1-line block ×4, first 2 shown]
	v_add_co_u32_e32 v0, vcc, s10, v28
	v_addc_co_u32_e64 v3, s[10:11], 0, -1, vcc
	v_cndmask_b32_e64 v1, v3, v1, s[2:3]
	v_cndmask_b32_e64 v0, v0, v2, s[2:3]
	v_lshlrev_b64 v[0:1], 6, v[0:1]
	v_mov_b32_e32 v2, s9
	v_add_co_u32_e32 v0, vcc, s8, v0
	v_addc_co_u32_e32 v1, vcc, v2, v1, vcc
	global_load_dwordx4 v[29:32], v[0:1], off offset:2720
	global_load_dwordx4 v[41:44], v[0:1], off offset:2736
	;; [unrolled: 1-line block ×4, first 2 shown]
	s_mov_b32 s8, 0x4755a5e
	s_mov_b32 s9, 0x3fe2cf23
	;; [unrolled: 1-line block ×5, first 2 shown]
	s_waitcnt vmcnt(11) lgkmcnt(1)
	v_mul_f64 v[14:15], v[152:153], v[70:71]
	s_waitcnt vmcnt(10)
	v_mul_f64 v[10:11], v[148:149], v[74:75]
	s_waitcnt vmcnt(9)
	;; [unrolled: 2-line block ×3, first 2 shown]
	v_mul_f64 v[2:3], v[140:141], v[82:83]
	v_mul_f64 v[0:1], v[142:143], v[82:83]
	;; [unrolled: 1-line block ×5, first 2 shown]
	v_fma_f64 v[14:15], v[154:155], v[68:69], v[14:15]
	v_fma_f64 v[10:11], v[150:151], v[72:73], v[10:11]
	;; [unrolled: 1-line block ×4, first 2 shown]
	s_waitcnt vmcnt(4)
	v_mul_f64 v[16:17], v[122:123], v[94:95]
	s_waitcnt lgkmcnt(0)
	v_mul_f64 v[156:157], v[134:135], v[66:67]
	v_fma_f64 v[0:1], v[140:141], v[80:81], -v[0:1]
	v_fma_f64 v[4:5], v[144:145], v[76:77], -v[4:5]
	s_waitcnt vmcnt(3)
	v_mul_f64 v[160:161], v[110:111], v[31:32]
	s_waitcnt vmcnt(2)
	v_mul_f64 v[164:165], v[106:107], v[43:44]
	;; [unrolled: 2-line block ×4, first 2 shown]
	v_mul_f64 v[162:163], v[108:109], v[31:32]
	v_mul_f64 v[166:167], v[104:105], v[43:44]
	;; [unrolled: 1-line block ×4, first 2 shown]
	v_fma_f64 v[142:143], v[108:109], v[29:30], -v[160:161]
	buffer_store_dword v29, off, s[64:67], 0 offset:132 ; 4-byte Folded Spill
	s_nop 0
	buffer_store_dword v30, off, s[64:67], 0 offset:136 ; 4-byte Folded Spill
	buffer_store_dword v31, off, s[64:67], 0 offset:140 ; 4-byte Folded Spill
	buffer_store_dword v32, off, s[64:67], 0 offset:144 ; 4-byte Folded Spill
	v_fma_f64 v[146:147], v[104:105], v[41:42], -v[164:165]
	buffer_store_dword v41, off, s[64:67], 0 offset:180 ; 4-byte Folded Spill
	s_nop 0
	buffer_store_dword v42, off, s[64:67], 0 offset:184 ; 4-byte Folded Spill
	buffer_store_dword v43, off, s[64:67], 0 offset:188 ; 4-byte Folded Spill
	buffer_store_dword v44, off, s[64:67], 0 offset:192 ; 4-byte Folded Spill
	;; [unrolled: 6-line block ×4, first 2 shown]
	v_fma_f64 v[8:9], v[148:149], v[72:73], -v[8:9]
	v_fma_f64 v[12:13], v[152:153], v[68:69], -v[12:13]
	v_mul_f64 v[18:19], v[120:121], v[94:95]
	v_mul_f64 v[22:23], v[124:125], v[90:91]
	;; [unrolled: 1-line block ×3, first 2 shown]
	v_fma_f64 v[16:17], v[120:121], v[92:93], -v[16:17]
	v_fma_f64 v[120:121], v[132:133], v[64:65], -v[156:157]
	v_mul_f64 v[20:21], v[126:127], v[90:91]
	v_mul_f64 v[62:63], v[128:129], v[86:87]
	v_add_f64 v[108:109], v[0:1], v[12:13]
	v_add_f64 v[96:97], v[112:113], v[0:1]
	v_fma_f64 v[22:23], v[126:127], v[88:89], v[22:23]
	v_fma_f64 v[60:61], v[128:129], v[84:85], -v[60:61]
	v_add_f64 v[100:101], v[2:3], -v[14:15]
	v_add_f64 v[104:105], v[0:1], -v[4:5]
	v_add_f64 v[126:127], v[114:115], v[2:3]
	v_add_f64 v[128:129], v[6:7], v[10:11]
	v_fma_f64 v[108:109], v[108:109], -0.5, v[112:113]
	v_fma_f64 v[20:21], v[124:125], v[88:89], -v[20:21]
	v_fma_f64 v[62:63], v[130:131], v[84:85], v[62:63]
	v_add_f64 v[124:125], v[8:9], -v[12:13]
	v_add_f64 v[130:131], v[4:5], -v[8:9]
	v_mul_f64 v[158:159], v[132:133], v[66:67]
	v_fma_f64 v[18:19], v[122:123], v[92:93], v[18:19]
	v_fma_f64 v[122:123], v[134:135], v[64:65], v[158:159]
	;; [unrolled: 1-line block ×3, first 2 shown]
	v_add_f64 v[110:111], v[4:5], -v[0:1]
	v_fma_f64 v[148:149], v[106:107], v[41:42], v[166:167]
	v_add_f64 v[106:107], v[12:13], -v[8:9]
	v_fma_f64 v[152:153], v[102:103], v[37:38], v[170:171]
	;; [unrolled: 2-line block ×3, first 2 shown]
	v_add_f64 v[98:99], v[4:5], v[8:9]
	v_add_f64 v[0:1], v[0:1], -v[12:13]
	v_add_f64 v[4:5], v[96:97], v[4:5]
	v_add_f64 v[96:97], v[126:127], v[6:7]
	;; [unrolled: 1-line block ×3, first 2 shown]
	v_fma_f64 v[106:107], v[128:129], -0.5, v[114:115]
	v_fma_f64 v[128:129], v[102:103], s[20:21], v[108:109]
	v_fma_f64 v[108:109], v[102:103], s[16:17], v[108:109]
	v_fma_f64 v[98:99], v[98:99], -0.5, v[112:113]
	v_add_f64 v[112:113], v[2:3], v[14:15]
	v_add_f64 v[110:111], v[110:111], v[124:125]
	v_add_f64 v[4:5], v[4:5], v[8:9]
	v_add_f64 v[8:9], v[96:97], v[10:11]
	v_fma_f64 v[124:125], v[0:1], s[20:21], v[106:107]
	v_fma_f64 v[128:129], v[100:101], s[8:9], v[128:129]
	;; [unrolled: 1-line block ×5, first 2 shown]
	v_fma_f64 v[114:115], v[112:113], -0.5, v[114:115]
	v_add_f64 v[96:97], v[4:5], v[12:13]
	v_add_f64 v[12:13], v[14:15], -v[10:11]
	v_fma_f64 v[4:5], v[130:131], s[18:19], v[124:125]
	v_fma_f64 v[106:107], v[0:1], s[16:17], v[106:107]
	;; [unrolled: 1-line block ×5, first 2 shown]
	v_add_f64 v[98:99], v[8:9], v[14:15]
	v_add_f64 v[8:9], v[2:3], -v[6:7]
	v_fma_f64 v[124:125], v[130:131], s[16:17], v[114:115]
	v_add_f64 v[2:3], v[6:7], -v[2:3]
	v_add_f64 v[6:7], v[10:11], -v[14:15]
	v_fma_f64 v[10:11], v[130:131], s[20:21], v[114:115]
	v_fma_f64 v[100:101], v[104:105], s[10:11], v[126:127]
	v_fma_f64 v[112:113], v[104:105], s[10:11], v[102:103]
	v_fma_f64 v[104:105], v[110:111], s[10:11], v[128:129]
	v_add_f64 v[102:103], v[116:117], v[16:17]
	v_add_f64 v[110:111], v[20:21], v[60:61]
	;; [unrolled: 1-line block ×3, first 2 shown]
	v_fma_f64 v[14:15], v[130:131], s[8:9], v[106:107]
	v_add_f64 v[128:129], v[18:19], -v[122:123]
	v_fma_f64 v[106:107], v[0:1], s[18:19], v[124:125]
	v_add_f64 v[2:3], v[2:3], v[6:7]
	v_fma_f64 v[0:1], v[0:1], s[8:9], v[10:11]
	v_add_f64 v[12:13], v[102:103], v[20:21]
	v_fma_f64 v[126:127], v[110:111], -0.5, v[116:117]
	v_add_f64 v[6:7], v[16:17], v[120:121]
	v_fma_f64 v[102:103], v[8:9], s[10:11], v[4:5]
	v_fma_f64 v[114:115], v[8:9], s[10:11], v[14:15]
	v_add_f64 v[8:9], v[22:23], -v[62:63]
	v_fma_f64 v[106:107], v[2:3], s[10:11], v[106:107]
	v_fma_f64 v[110:111], v[2:3], s[10:11], v[0:1]
	v_add_f64 v[10:11], v[12:13], v[60:61]
	v_fma_f64 v[4:5], v[128:129], s[16:17], v[126:127]
	v_fma_f64 v[0:1], v[6:7], -0.5, v[116:117]
	v_add_f64 v[2:3], v[16:17], -v[20:21]
	v_add_f64 v[6:7], v[120:121], -v[60:61]
	v_add_f64 v[12:13], v[118:119], v[18:19]
	v_add_f64 v[14:15], v[22:23], v[62:63]
	v_add_f64 v[130:131], v[60:61], -v[120:121]
	v_add_f64 v[116:117], v[10:11], v[120:121]
	v_fma_f64 v[10:11], v[128:129], s[20:21], v[126:127]
	v_fma_f64 v[4:5], v[8:9], s[8:9], v[4:5]
	;; [unrolled: 1-line block ×3, first 2 shown]
	v_add_f64 v[126:127], v[20:21], -v[16:17]
	v_add_f64 v[2:3], v[2:3], v[6:7]
	v_fma_f64 v[0:1], v[8:9], s[16:17], v[0:1]
	v_fma_f64 v[6:7], v[8:9], s[18:19], v[10:11]
	v_add_f64 v[8:9], v[12:13], v[22:23]
	v_fma_f64 v[10:11], v[14:15], -0.5, v[118:119]
	v_add_f64 v[12:13], v[16:17], -v[120:121]
	v_fma_f64 v[14:15], v[128:129], s[8:9], v[124:125]
	v_add_f64 v[16:17], v[126:127], v[130:131]
	v_fma_f64 v[120:121], v[2:3], s[10:11], v[4:5]
	v_fma_f64 v[0:1], v[128:129], s[18:19], v[0:1]
	v_add_f64 v[4:5], v[18:19], v[122:123]
	v_fma_f64 v[124:125], v[2:3], s[10:11], v[6:7]
	v_add_f64 v[2:3], v[8:9], v[62:63]
	v_fma_f64 v[6:7], v[12:13], s[20:21], v[10:11]
	v_add_f64 v[8:9], v[20:21], -v[60:61]
	v_fma_f64 v[128:129], v[16:17], s[10:11], v[14:15]
	v_add_f64 v[14:15], v[146:147], v[150:151]
	v_add_f64 v[20:21], v[18:19], -v[22:23]
	v_add_f64 v[60:61], v[122:123], -v[62:63]
	v_fma_f64 v[132:133], v[16:17], s[10:11], v[0:1]
	v_fma_f64 v[0:1], v[4:5], -0.5, v[118:119]
	v_add_f64 v[118:119], v[2:3], v[122:123]
	v_fma_f64 v[2:3], v[8:9], s[18:19], v[6:7]
	v_add_f64 v[4:5], v[136:137], v[142:143]
	v_fma_f64 v[6:7], v[14:15], -0.5, v[136:137]
	v_add_f64 v[14:15], v[144:145], -v[156:157]
	v_add_f64 v[16:17], v[20:21], v[60:61]
	v_add_f64 v[18:19], v[22:23], -v[18:19]
	v_fma_f64 v[20:21], v[8:9], s[16:17], v[0:1]
	v_add_f64 v[22:23], v[62:63], -v[122:123]
	v_fma_f64 v[0:1], v[8:9], s[20:21], v[0:1]
	v_fma_f64 v[10:11], v[12:13], s[16:17], v[10:11]
	v_add_f64 v[4:5], v[4:5], v[146:147]
	v_fma_f64 v[60:61], v[14:15], s[16:17], v[6:7]
	v_add_f64 v[62:63], v[148:149], -v[152:153]
	v_add_f64 v[122:123], v[142:143], -v[146:147]
	;; [unrolled: 1-line block ×3, first 2 shown]
	v_add_f64 v[18:19], v[18:19], v[22:23]
	v_fma_f64 v[0:1], v[12:13], s[8:9], v[0:1]
	v_fma_f64 v[8:9], v[8:9], s[8:9], v[10:11]
	v_add_f64 v[10:11], v[142:143], v[154:155]
	v_fma_f64 v[20:21], v[12:13], s[18:19], v[20:21]
	v_add_f64 v[4:5], v[4:5], v[150:151]
	;; [unrolled: 2-line block ×3, first 2 shown]
	v_fma_f64 v[122:123], v[16:17], s[10:11], v[2:3]
	v_fma_f64 v[134:135], v[18:19], s[10:11], v[0:1]
	v_add_f64 v[0:1], v[148:149], v[152:153]
	v_fma_f64 v[2:3], v[10:11], -0.5, v[136:137]
	v_fma_f64 v[126:127], v[16:17], s[10:11], v[8:9]
	v_fma_f64 v[130:131], v[18:19], s[10:11], v[20:21]
	v_add_f64 v[136:137], v[4:5], v[154:155]
	v_fma_f64 v[140:141], v[22:23], s[10:11], v[12:13]
	v_fma_f64 v[4:5], v[14:15], s[20:21], v[6:7]
	v_add_f64 v[8:9], v[146:147], -v[142:143]
	v_add_f64 v[12:13], v[150:151], -v[154:155]
	v_add_f64 v[16:17], v[138:139], v[144:145]
	v_fma_f64 v[0:1], v[0:1], -0.5, v[138:139]
	v_add_f64 v[18:19], v[142:143], -v[154:155]
	v_fma_f64 v[6:7], v[62:63], s[20:21], v[2:3]
	v_add_f64 v[20:21], v[146:147], -v[150:151]
	v_fma_f64 v[4:5], v[62:63], s[18:19], v[4:5]
	v_fma_f64 v[2:3], v[62:63], s[16:17], v[2:3]
	v_add_f64 v[8:9], v[8:9], v[12:13]
	v_add_f64 v[12:13], v[16:17], v[148:149]
	v_add_f64 v[60:61], v[144:145], -v[148:149]
	v_fma_f64 v[16:17], v[18:19], s[20:21], v[0:1]
	v_add_f64 v[62:63], v[156:157], -v[152:153]
	v_fma_f64 v[0:1], v[18:19], s[16:17], v[0:1]
	v_fma_f64 v[6:7], v[14:15], s[8:9], v[6:7]
	v_fma_f64 v[2:3], v[14:15], s[18:19], v[2:3]
	v_add_f64 v[10:11], v[144:145], v[156:157]
	v_add_f64 v[142:143], v[148:149], -v[144:145]
	v_add_f64 v[144:145], v[152:153], -v[156:157]
	v_fma_f64 v[14:15], v[20:21], s[18:19], v[16:17]
	v_add_f64 v[16:17], v[60:61], v[62:63]
	v_fma_f64 v[0:1], v[20:21], s[8:9], v[0:1]
	v_add_f64 v[12:13], v[12:13], v[152:153]
	v_fma_f64 v[152:153], v[22:23], s[10:11], v[4:5]
	v_fma_f64 v[10:11], v[10:11], -0.5, v[138:139]
	v_fma_f64 v[148:149], v[8:9], s[10:11], v[2:3]
	v_add_f64 v[60:61], v[142:143], v[144:145]
	v_fma_f64 v[144:145], v[8:9], s[10:11], v[6:7]
	v_fma_f64 v[142:143], v[16:17], s[10:11], v[14:15]
	v_fma_f64 v[154:155], v[16:17], s[10:11], v[0:1]
	buffer_load_dword v1, off, s[64:67], 0 offset:8 ; 4-byte Folded Reload
	v_lshlrev_b32_e32 v0, 4, v28
	v_fma_f64 v[138:139], v[20:21], s[16:17], v[10:11]
	v_fma_f64 v[10:11], v[20:21], s[20:21], v[10:11]
	;; [unrolled: 1-line block ×4, first 2 shown]
	v_add_f64 v[138:139], v[12:13], v[156:157]
	v_fma_f64 v[146:147], v[60:61], s[10:11], v[20:21]
	v_fma_f64 v[150:151], v[60:61], s[10:11], v[10:11]
	s_waitcnt vmcnt(0)
	v_lshl_add_u32 v60, v28, 4, v1
	v_add_u32_e32 v61, v0, v1
	ds_write_b128 v60, v[96:99]
	ds_write_b128 v60, v[100:103] offset:2992
	ds_write_b128 v60, v[104:107] offset:5984
	;; [unrolled: 1-line block ×9, first 2 shown]
	s_and_saveexec_b64 s[8:9], s[2:3]
	s_cbranch_execz .LBB0_11
; %bb.10:
	ds_write_b128 v60, v[136:139] offset:2720
	ds_write_b128 v60, v[140:143] offset:5712
	ds_write_b128 v60, v[144:147] offset:8704
	ds_write_b128 v60, v[148:151] offset:11696
	ds_write_b128 v60, v[152:155] offset:14688
.LBB0_11:
	s_or_b64 exec, exec, s[8:9]
	s_waitcnt lgkmcnt(0)
	s_barrier
	s_and_saveexec_b64 s[8:9], s[0:1]
	s_cbranch_execz .LBB0_13
; %bb.12:
	buffer_load_dword v0, off, s[64:67], 0  ; 4-byte Folded Reload
	v_mov_b32_e32 v1, s13
	ds_read_b128 v[2:5], v60
	s_movk_i32 s10, 0x4000
	s_waitcnt vmcnt(0)
	v_lshlrev_b32_e32 v0, 4, v0
	v_add_co_u32_e32 v0, vcc, s12, v0
	v_addc_co_u32_e32 v1, vcc, 0, v1, vcc
	v_add_co_u32_e32 v14, vcc, 0x3a70, v0
	v_addc_co_u32_e32 v15, vcc, 0, v1, vcc
	;; [unrolled: 2-line block ×3, first 2 shown]
	global_load_dwordx4 v[6:9], v[6:7], off offset:2672
	s_waitcnt vmcnt(0) lgkmcnt(0)
	v_mul_f64 v[10:11], v[4:5], v[8:9]
	v_fma_f64 v[10:11], v[2:3], v[6:7], -v[10:11]
	v_mul_f64 v[2:3], v[2:3], v[8:9]
	v_fma_f64 v[12:13], v[4:5], v[6:7], v[2:3]
	global_load_dwordx4 v[6:9], v[14:15], off offset:880
	ds_read_b128 v[2:5], v60 offset:880
	ds_write_b128 v60, v[10:13]
	s_waitcnt vmcnt(0) lgkmcnt(1)
	v_mul_f64 v[10:11], v[4:5], v[8:9]
	v_fma_f64 v[10:11], v[2:3], v[6:7], -v[10:11]
	v_mul_f64 v[2:3], v[2:3], v[8:9]
	v_fma_f64 v[12:13], v[4:5], v[6:7], v[2:3]
	global_load_dwordx4 v[6:9], v[14:15], off offset:1760
	ds_read_b128 v[2:5], v60 offset:1760
	ds_write_b128 v60, v[10:13] offset:880
	s_waitcnt vmcnt(0) lgkmcnt(1)
	v_mul_f64 v[10:11], v[4:5], v[8:9]
	v_fma_f64 v[10:11], v[2:3], v[6:7], -v[10:11]
	v_mul_f64 v[2:3], v[2:3], v[8:9]
	v_fma_f64 v[12:13], v[4:5], v[6:7], v[2:3]
	global_load_dwordx4 v[6:9], v[14:15], off offset:2640
	ds_read_b128 v[2:5], v60 offset:2640
	ds_write_b128 v60, v[10:13] offset:1760
	s_waitcnt vmcnt(0) lgkmcnt(1)
	v_mul_f64 v[10:11], v[4:5], v[8:9]
	v_fma_f64 v[10:11], v[2:3], v[6:7], -v[10:11]
	v_mul_f64 v[2:3], v[2:3], v[8:9]
	v_fma_f64 v[12:13], v[4:5], v[6:7], v[2:3]
	global_load_dwordx4 v[6:9], v[14:15], off offset:3520
	ds_read_b128 v[2:5], v60 offset:3520
	v_add_co_u32_e32 v14, vcc, s10, v0
	v_addc_co_u32_e32 v15, vcc, 0, v1, vcc
	s_movk_i32 s10, 0x5000
	ds_write_b128 v60, v[10:13] offset:2640
	s_waitcnt vmcnt(0) lgkmcnt(1)
	v_mul_f64 v[10:11], v[4:5], v[8:9]
	v_fma_f64 v[10:11], v[2:3], v[6:7], -v[10:11]
	v_mul_f64 v[2:3], v[2:3], v[8:9]
	v_fma_f64 v[12:13], v[4:5], v[6:7], v[2:3]
	global_load_dwordx4 v[6:9], v[14:15], off offset:2976
	ds_read_b128 v[2:5], v60 offset:4400
	ds_write_b128 v60, v[10:13] offset:3520
	s_waitcnt vmcnt(0) lgkmcnt(1)
	v_mul_f64 v[10:11], v[4:5], v[8:9]
	v_fma_f64 v[10:11], v[2:3], v[6:7], -v[10:11]
	v_mul_f64 v[2:3], v[2:3], v[8:9]
	v_fma_f64 v[12:13], v[4:5], v[6:7], v[2:3]
	global_load_dwordx4 v[6:9], v[14:15], off offset:3856
	ds_read_b128 v[2:5], v60 offset:5280
	v_add_co_u32_e32 v14, vcc, s10, v0
	v_addc_co_u32_e32 v15, vcc, 0, v1, vcc
	s_movk_i32 s10, 0x6000
	ds_write_b128 v60, v[10:13] offset:4400
	s_waitcnt vmcnt(0) lgkmcnt(1)
	v_mul_f64 v[10:11], v[4:5], v[8:9]
	v_fma_f64 v[10:11], v[2:3], v[6:7], -v[10:11]
	v_mul_f64 v[2:3], v[2:3], v[8:9]
	v_fma_f64 v[12:13], v[4:5], v[6:7], v[2:3]
	global_load_dwordx4 v[6:9], v[14:15], off offset:640
	ds_read_b128 v[2:5], v60 offset:6160
	ds_write_b128 v60, v[10:13] offset:5280
	s_waitcnt vmcnt(0) lgkmcnt(1)
	v_mul_f64 v[10:11], v[4:5], v[8:9]
	v_fma_f64 v[10:11], v[2:3], v[6:7], -v[10:11]
	v_mul_f64 v[2:3], v[2:3], v[8:9]
	v_fma_f64 v[12:13], v[4:5], v[6:7], v[2:3]
	global_load_dwordx4 v[6:9], v[14:15], off offset:1520
	ds_read_b128 v[2:5], v60 offset:7040
	;; [unrolled: 8-line block ×4, first 2 shown]
	v_add_co_u32_e32 v14, vcc, s10, v0
	v_addc_co_u32_e32 v15, vcc, 0, v1, vcc
	s_movk_i32 s10, 0x7000
	ds_write_b128 v60, v[10:13] offset:7920
	v_add_co_u32_e32 v0, vcc, s10, v0
	v_addc_co_u32_e32 v1, vcc, 0, v1, vcc
	s_waitcnt vmcnt(0) lgkmcnt(1)
	v_mul_f64 v[10:11], v[4:5], v[8:9]
	v_fma_f64 v[10:11], v[2:3], v[6:7], -v[10:11]
	v_mul_f64 v[2:3], v[2:3], v[8:9]
	v_fma_f64 v[12:13], v[4:5], v[6:7], v[2:3]
	global_load_dwordx4 v[6:9], v[14:15], off offset:64
	ds_read_b128 v[2:5], v60 offset:9680
	ds_write_b128 v60, v[10:13] offset:8800
	s_waitcnt vmcnt(0) lgkmcnt(1)
	v_mul_f64 v[10:11], v[4:5], v[8:9]
	v_fma_f64 v[10:11], v[2:3], v[6:7], -v[10:11]
	v_mul_f64 v[2:3], v[2:3], v[8:9]
	v_fma_f64 v[12:13], v[4:5], v[6:7], v[2:3]
	global_load_dwordx4 v[6:9], v[14:15], off offset:944
	ds_read_b128 v[2:5], v60 offset:10560
	ds_write_b128 v60, v[10:13] offset:9680
	;; [unrolled: 8-line block ×6, first 2 shown]
	s_waitcnt vmcnt(0) lgkmcnt(1)
	v_mul_f64 v[0:1], v[4:5], v[8:9]
	v_fma_f64 v[0:1], v[2:3], v[6:7], -v[0:1]
	v_mul_f64 v[2:3], v[2:3], v[8:9]
	v_fma_f64 v[2:3], v[4:5], v[6:7], v[2:3]
	ds_write_b128 v60, v[0:3] offset:14080
.LBB0_13:
	s_or_b64 exec, exec, s[8:9]
	s_waitcnt lgkmcnt(0)
	s_barrier
	s_and_saveexec_b64 s[8:9], s[0:1]
	s_cbranch_execz .LBB0_15
; %bb.14:
	ds_read_b128 v[96:99], v60
	ds_read_b128 v[100:103], v60 offset:880
	ds_read_b128 v[104:107], v60 offset:1760
	;; [unrolled: 1-line block ×16, first 2 shown]
.LBB0_15:
	s_or_b64 exec, exec, s[8:9]
	s_waitcnt lgkmcnt(0)
	v_add_f64 v[197:198], v[102:103], -v[225:226]
	s_mov_b32 s20, 0xeb564b22
	s_mov_b32 s21, 0xbfefdd0d
	v_add_f64 v[195:196], v[102:103], v[225:226]
	v_add_f64 v[203:204], v[106:107], -v[237:238]
	s_mov_b32 s10, 0x3259b75e
	s_mov_b32 s26, 0x923c349f
	;; [unrolled: 1-line block ×3, first 2 shown]
	v_mul_f64 v[4:5], v[197:198], s[20:21]
	s_mov_b32 s34, 0xacd6c6b4
	s_mov_b32 s11, 0x3fb79ee6
	;; [unrolled: 1-line block ×5, first 2 shown]
	v_mul_f64 v[6:7], v[195:196], s[10:11]
	v_mul_f64 v[8:9], v[197:198], s[26:27]
	buffer_store_dword v4, off, s[64:67], 0 offset:196 ; 4-byte Folded Spill
	s_nop 0
	buffer_store_dword v5, off, s[64:67], 0 offset:200 ; 4-byte Folded Spill
	v_mul_f64 v[10:11], v[195:196], s[18:19]
	v_add_f64 v[201:202], v[106:107], v[237:238]
	v_mul_f64 v[16:17], v[203:204], s[34:35]
	s_mov_b32 s22, 0x7faef3
	s_mov_b32 s44, 0x4363dd80
	;; [unrolled: 1-line block ×4, first 2 shown]
	buffer_store_dword v6, off, s[64:67], 0 offset:220 ; 4-byte Folded Spill
	s_nop 0
	buffer_store_dword v7, off, s[64:67], 0 offset:224 ; 4-byte Folded Spill
	buffer_store_dword v8, off, s[64:67], 0 offset:236 ; 4-byte Folded Spill
	s_nop 0
	buffer_store_dword v9, off, s[64:67], 0 offset:240 ; 4-byte Folded Spill
	;; [unrolled: 3-line block ×3, first 2 shown]
	v_mul_f64 v[18:19], v[201:202], s[22:23]
	v_mul_f64 v[20:21], v[203:204], s[44:45]
	buffer_store_dword v16, off, s[64:67], 0 offset:228 ; 4-byte Folded Spill
	s_nop 0
	buffer_store_dword v17, off, s[64:67], 0 offset:232 ; 4-byte Folded Spill
	s_mov_b32 s28, 0x910ea3b9
	s_mov_b32 s29, 0xbfeb34fa
	v_mul_f64 v[22:23], v[201:202], s[28:29]
	buffer_store_dword v18, off, s[64:67], 0 offset:252 ; 4-byte Folded Spill
	s_nop 0
	buffer_store_dword v19, off, s[64:67], 0 offset:256 ; 4-byte Folded Spill
	buffer_store_dword v20, off, s[64:67], 0 offset:308 ; 4-byte Folded Spill
	s_nop 0
	buffer_store_dword v21, off, s[64:67], 0 offset:312 ; 4-byte Folded Spill
	;; [unrolled: 3-line block ×3, first 2 shown]
	s_mov_b32 s8, 0x2b2883cd
	s_mov_b32 s9, 0x3fdc86fa
	v_add_f64 v[193:194], v[100:101], v[223:224]
	v_add_f64 v[211:212], v[100:101], -v[223:224]
	v_mul_f64 v[40:41], v[195:196], s[8:9]
	s_mov_b32 s16, 0x7c9e640b
	s_mov_b32 s24, 0x6ed5f1bb
	;; [unrolled: 1-line block ×4, first 2 shown]
	v_mov_b32_e32 v28, v223
	v_add_f64 v[199:200], v[104:105], v[235:236]
	v_mov_b32_e32 v29, v224
	v_fma_f64 v[2:3], v[211:212], s[16:17], v[40:41]
	v_mov_b32_e32 v30, v225
	v_mov_b32_e32 v31, v226
	v_add_f64 v[223:224], v[104:105], -v[235:236]
	v_mul_f64 v[44:45], v[201:202], s[24:25]
	s_mov_b32 s30, 0x6c9a05f6
	s_mov_b32 s31, 0xbfe9895b
	v_add_f64 v[209:210], v[110:111], -v[154:155]
	v_add_f64 v[2:3], v[98:99], v[2:3]
	v_add_f64 v[207:208], v[110:111], v[154:155]
	s_mov_b32 s49, 0x3feec746
	s_mov_b32 s48, s26
	v_fma_f64 v[14:15], v[223:224], s[30:31], v[44:45]
	s_mov_b32 s54, 0x2a9d6da3
	s_mov_b32 s55, 0x3fe58eea
	;; [unrolled: 1-line block ×4, first 2 shown]
	v_mul_f64 v[36:37], v[197:198], s[16:17]
	v_mul_f64 v[38:39], v[203:204], s[30:31]
	v_add_f64 v[205:206], v[108:109], v[152:153]
	v_add_f64 v[2:3], v[14:15], v[2:3]
	v_mul_f64 v[14:15], v[207:208], s[22:23]
	buffer_store_dword v14, off, s[64:67], 0 offset:212 ; 4-byte Folded Spill
	s_nop 0
	buffer_store_dword v15, off, s[64:67], 0 offset:216 ; 4-byte Folded Spill
	v_fma_f64 v[0:1], v[193:194], s[8:9], -v[36:37]
	s_mov_b32 s57, 0x3fc7851a
	s_mov_b32 s56, s34
	v_fma_f64 v[12:13], v[199:200], s[24:25], -v[38:39]
	v_add_f64 v[217:218], v[108:109], -v[152:153]
	v_mul_f64 v[42:43], v[209:210], s[56:57]
	v_add_f64 v[219:220], v[114:115], -v[150:151]
	s_mov_b32 s38, 0x5d8e7cdc
	v_add_f64 v[0:1], v[96:97], v[0:1]
	s_mov_b32 s39, 0xbfd71e95
	s_mov_b32 s51, 0x3fd71e95
	;; [unrolled: 1-line block ×3, first 2 shown]
	v_fma_f64 v[4:5], v[193:194], s[10:11], -v[4:5]
	v_add_f64 v[215:216], v[114:115], v[150:151]
	s_mov_b32 s40, 0x370991
	s_mov_b32 s41, 0x3fedd6d0
	v_add_f64 v[0:1], v[12:13], v[0:1]
	v_fma_f64 v[12:13], v[205:206], s[22:23], -v[42:43]
	v_add_f64 v[213:214], v[112:113], v[148:149]
	v_mul_f64 v[54:55], v[219:220], s[48:49]
	v_fma_f64 v[6:7], v[211:212], s[20:21], v[6:7]
	v_fma_f64 v[8:9], v[193:194], s[18:19], -v[8:9]
	v_add_f64 v[4:5], v[96:97], v[4:5]
	v_fma_f64 v[10:11], v[211:212], s[26:27], v[10:11]
	v_add_f64 v[227:228], v[112:113], -v[148:149]
	v_fma_f64 v[16:17], v[199:200], s[22:23], -v[16:17]
	v_add_f64 v[0:1], v[12:13], v[0:1]
	v_mul_f64 v[26:27], v[215:216], s[18:19]
	v_add_f64 v[6:7], v[98:99], v[6:7]
	v_add_f64 v[8:9], v[96:97], v[8:9]
	v_add_f64 v[229:230], v[118:119], -v[146:147]
	v_fma_f64 v[18:19], v[223:224], s[34:35], v[18:19]
	v_fma_f64 v[20:21], v[199:200], s[28:29], -v[20:21]
	v_add_f64 v[4:5], v[16:17], v[4:5]
	v_mul_f64 v[16:17], v[209:210], s[48:49]
	v_add_f64 v[10:11], v[98:99], v[10:11]
	v_fma_f64 v[22:23], v[223:224], s[44:45], v[22:23]
	buffer_store_dword v16, off, s[64:67], 0 offset:244 ; 4-byte Folded Spill
	s_nop 0
	buffer_store_dword v17, off, s[64:67], 0 offset:248 ; 4-byte Folded Spill
	v_add_f64 v[6:7], v[18:19], v[6:7]
	v_add_f64 v[8:9], v[20:21], v[8:9]
	v_mul_f64 v[18:19], v[207:208], s[18:19]
	v_mul_f64 v[20:21], v[209:210], s[54:55]
	v_add_f64 v[10:11], v[22:23], v[10:11]
	v_mul_f64 v[22:23], v[207:208], s[36:37]
	buffer_store_dword v18, off, s[64:67], 0 offset:292 ; 4-byte Folded Spill
	s_nop 0
	buffer_store_dword v19, off, s[64:67], 0 offset:296 ; 4-byte Folded Spill
	buffer_store_dword v20, off, s[64:67], 0 offset:356 ; 4-byte Folded Spill
	s_nop 0
	buffer_store_dword v21, off, s[64:67], 0 offset:360 ; 4-byte Folded Spill
	;; [unrolled: 3-line block ×3, first 2 shown]
	v_add_f64 v[225:226], v[118:119], v[146:147]
	v_mul_f64 v[24:25], v[229:230], s[34:35]
	v_add_f64 v[221:222], v[116:117], v[144:145]
	v_mov_b32_e32 v32, v235
	v_mov_b32_e32 v33, v236
	;; [unrolled: 1-line block ×4, first 2 shown]
	v_add_f64 v[235:236], v[116:117], -v[144:145]
	v_mul_f64 v[62:63], v[225:226], s[22:23]
	v_add_f64 v[241:242], v[122:123], -v[142:143]
	v_add_f64 v[233:234], v[122:123], v[142:143]
	s_mov_b32 s43, 0xbfe0d888
	s_mov_b32 s42, s44
	;; [unrolled: 1-line block ×4, first 2 shown]
	v_add_f64 v[231:232], v[120:121], v[140:141]
	v_add_f64 v[245:246], v[120:121], -v[140:141]
	v_add_f64 v[239:240], v[130:131], v[138:139]
	v_add_f64 v[251:252], v[130:131], -v[138:139]
	s_mov_b32 s61, 0x3fe9895b
	s_mov_b32 s60, s30
	v_fma_f64 v[14:15], v[217:218], s[56:57], v[14:15]
	v_add_f64 v[253:254], v[128:129], -v[136:137]
	v_add_f64 v[174:175], v[134:135], -v[126:127]
	v_add_f64 v[247:248], v[134:135], v[126:127]
	v_mul_f64 v[156:157], v[239:240], s[10:11]
	v_mul_f64 v[160:161], v[197:198], s[30:31]
	v_add_f64 v[237:238], v[128:129], v[136:137]
	v_mul_f64 v[186:187], v[239:240], s[40:41]
	v_add_f64 v[2:3], v[14:15], v[2:3]
	v_fma_f64 v[14:15], v[227:228], s[48:49], v[26:27]
	v_mul_f64 v[158:159], v[174:175], s[54:55]
	v_mul_f64 v[162:163], v[247:248], s[36:37]
	v_add_f64 v[249:250], v[132:133], v[124:125]
	v_add_f64 v[176:177], v[132:133], -v[124:125]
	v_mul_f64 v[180:181], v[247:248], s[24:25]
	v_mul_f64 v[182:183], v[203:204], s[48:49]
	;; [unrolled: 1-line block ×3, first 2 shown]
	v_add_f64 v[2:3], v[14:15], v[2:3]
	v_mul_f64 v[188:189], v[219:220], s[42:43]
	s_mov_b32 s53, 0xbfe58eea
	s_mov_b32 s52, s54
	v_mul_f64 v[172:173], v[233:234], s[36:37]
	v_mul_f64 v[184:185], v[239:240], s[22:23]
	s_mov_b32 s59, 0x3feca52d
	s_mov_b32 s58, s16
	v_mul_f64 v[243:244], v[174:175], s[58:59]
	v_mul_f64 v[178:179], v[247:248], s[8:9]
	v_fma_f64 v[16:17], v[205:206], s[18:19], -v[16:17]
	v_add_f64 v[4:5], v[16:17], v[4:5]
	v_mul_f64 v[16:17], v[219:220], s[50:51]
	buffer_store_dword v16, off, s[64:67], 0 offset:300 ; 4-byte Folded Spill
	s_nop 0
	buffer_store_dword v17, off, s[64:67], 0 offset:304 ; 4-byte Folded Spill
	v_fma_f64 v[18:19], v[217:218], s[48:49], v[18:19]
	v_fma_f64 v[20:21], v[205:206], s[36:37], -v[20:21]
	v_fma_f64 v[12:13], v[217:218], s[54:55], v[22:23]
	v_mul_f64 v[22:23], v[215:216], s[8:9]
	v_add_f64 v[6:7], v[18:19], v[6:7]
	v_add_f64 v[8:9], v[20:21], v[8:9]
	v_mul_f64 v[18:19], v[215:216], s[40:41]
	v_mul_f64 v[20:21], v[219:220], s[16:17]
	buffer_store_dword v18, off, s[64:67], 0 offset:348 ; 4-byte Folded Spill
	s_nop 0
	buffer_store_dword v19, off, s[64:67], 0 offset:352 ; 4-byte Folded Spill
	buffer_store_dword v20, off, s[64:67], 0 offset:420 ; 4-byte Folded Spill
	s_nop 0
	buffer_store_dword v21, off, s[64:67], 0 offset:424 ; 4-byte Folded Spill
	;; [unrolled: 3-line block ×3, first 2 shown]
	v_add_f64 v[10:11], v[12:13], v[10:11]
	v_fma_f64 v[12:13], v[213:214], s[18:19], -v[54:55]
	v_add_f64 v[0:1], v[12:13], v[0:1]
	v_fma_f64 v[16:17], v[213:214], s[40:41], -v[16:17]
	v_add_f64 v[4:5], v[16:17], v[4:5]
	v_mul_f64 v[16:17], v[229:230], s[54:55]
	buffer_store_dword v16, off, s[64:67], 0 offset:204 ; 4-byte Folded Spill
	s_nop 0
	buffer_store_dword v17, off, s[64:67], 0 offset:208 ; 4-byte Folded Spill
	v_fma_f64 v[12:13], v[227:228], s[50:51], v[18:19]
	v_fma_f64 v[14:15], v[213:214], s[8:9], -v[20:21]
	v_fma_f64 v[18:19], v[227:228], s[16:17], v[22:23]
	v_mul_f64 v[20:21], v[225:226], s[36:37]
	v_mul_f64 v[22:23], v[225:226], s[8:9]
	buffer_store_dword v20, off, s[64:67], 0 offset:260 ; 4-byte Folded Spill
	s_nop 0
	buffer_store_dword v21, off, s[64:67], 0 offset:264 ; 4-byte Folded Spill
	v_add_f64 v[10:11], v[18:19], v[10:11]
	v_mul_f64 v[18:19], v[229:230], s[16:17]
	buffer_store_dword v18, off, s[64:67], 0 offset:324 ; 4-byte Folded Spill
	s_nop 0
	buffer_store_dword v19, off, s[64:67], 0 offset:328 ; 4-byte Folded Spill
	buffer_store_dword v22, off, s[64:67], 0 offset:364 ; 4-byte Folded Spill
	s_nop 0
	buffer_store_dword v23, off, s[64:67], 0 offset:368 ; 4-byte Folded Spill
	;; [unrolled: 3-line block ×4, first 2 shown]
	v_add_f64 v[6:7], v[12:13], v[6:7]
	v_add_f64 v[8:9], v[14:15], v[8:9]
	v_fma_f64 v[12:13], v[221:222], s[36:37], -v[16:17]
	v_add_f64 v[12:13], v[12:13], v[0:1]
	v_fma_f64 v[14:15], v[235:236], s[54:55], v[20:21]
	v_add_f64 v[2:3], v[14:15], v[2:3]
	v_fma_f64 v[16:17], v[221:222], s[8:9], -v[18:19]
	v_fma_f64 v[18:19], v[235:236], s[16:17], v[22:23]
	v_mul_f64 v[22:23], v[233:234], s[28:29]
	v_fma_f64 v[0:1], v[235:236], s[34:35], v[62:63]
	v_mul_f64 v[62:63], v[241:242], s[62:63]
	v_fma_f64 v[20:21], v[221:222], s[22:23], -v[24:25]
	v_mul_f64 v[24:25], v[241:242], s[38:39]
	v_add_f64 v[14:15], v[16:17], v[4:5]
	v_mul_f64 v[4:5], v[233:234], s[40:41]
	buffer_store_dword v4, off, s[64:67], 0 offset:276 ; 4-byte Folded Spill
	s_nop 0
	buffer_store_dword v5, off, s[64:67], 0 offset:280 ; 4-byte Folded Spill
	v_add_f64 v[10:11], v[0:1], v[10:11]
	v_mul_f64 v[0:1], v[241:242], s[42:43]
	buffer_store_dword v0, off, s[64:67], 0 offset:340 ; 4-byte Folded Spill
	s_nop 0
	buffer_store_dword v1, off, s[64:67], 0 offset:344 ; 4-byte Folded Spill
	buffer_store_dword v22, off, s[64:67], 0 offset:412 ; 4-byte Folded Spill
	s_nop 0
	buffer_store_dword v23, off, s[64:67], 0 offset:416 ; 4-byte Folded Spill
	;; [unrolled: 3-line block ×3, first 2 shown]
	v_add_f64 v[6:7], v[18:19], v[6:7]
	v_add_f64 v[8:9], v[20:21], v[8:9]
	buffer_store_dword v156, off, s[64:67], 0 offset:316 ; 4-byte Folded Spill
	s_nop 0
	buffer_store_dword v157, off, s[64:67], 0 offset:320 ; 4-byte Folded Spill
	v_fma_f64 v[16:17], v[231:232], s[40:41], -v[24:25]
	v_add_f64 v[12:13], v[16:17], v[12:13]
	v_fma_f64 v[18:19], v[245:246], s[38:39], v[4:5]
	v_mul_f64 v[4:5], v[233:234], s[10:11]
	v_add_f64 v[16:17], v[18:19], v[2:3]
	v_fma_f64 v[2:3], v[245:246], s[62:63], v[4:5]
	v_fma_f64 v[20:21], v[231:232], s[28:29], -v[0:1]
	v_fma_f64 v[22:23], v[245:246], s[42:43], v[22:23]
	v_fma_f64 v[62:63], v[231:232], s[10:11], -v[62:63]
	v_mul_f64 v[0:1], v[251:252], s[20:21]
	v_add_f64 v[10:11], v[2:3], v[10:11]
	v_add_f64 v[14:15], v[20:21], v[14:15]
	;; [unrolled: 1-line block ×4, first 2 shown]
	v_mul_f64 v[22:23], v[251:252], s[60:61]
	v_mul_f64 v[62:63], v[239:240], s[24:25]
	buffer_store_dword v22, off, s[64:67], 0 offset:388 ; 4-byte Folded Spill
	s_nop 0
	buffer_store_dword v23, off, s[64:67], 0 offset:392 ; 4-byte Folded Spill
	buffer_store_dword v62, off, s[64:67], 0 offset:452 ; 4-byte Folded Spill
	s_nop 0
	buffer_store_dword v63, off, s[64:67], 0 offset:456 ; 4-byte Folded Spill
	v_fma_f64 v[20:21], v[253:254], s[20:21], v[156:157]
	v_mul_f64 v[156:157], v[247:248], s[28:29]
	v_fma_f64 v[18:19], v[237:238], s[10:11], -v[0:1]
	v_mul_f64 v[2:3], v[251:252], s[38:39]
	v_add_f64 v[16:17], v[20:21], v[16:17]
	v_add_f64 v[12:13], v[18:19], v[12:13]
	v_fma_f64 v[18:19], v[237:238], s[24:25], -v[22:23]
	v_fma_f64 v[20:21], v[253:254], s[60:61], v[62:63]
	v_mul_f64 v[62:63], v[174:175], s[42:43]
	buffer_store_dword v62, off, s[64:67], 0 offset:284 ; 4-byte Folded Spill
	s_nop 0
	buffer_store_dword v63, off, s[64:67], 0 offset:288 ; 4-byte Folded Spill
	buffer_store_dword v156, off, s[64:67], 0 offset:372 ; 4-byte Folded Spill
	s_nop 0
	buffer_store_dword v157, off, s[64:67], 0 offset:376 ; 4-byte Folded Spill
	;; [unrolled: 3-line block ×5, first 2 shown]
	v_fma_f64 v[22:23], v[237:238], s[40:41], -v[2:3]
	v_add_f64 v[14:15], v[18:19], v[14:15]
	v_add_f64 v[18:19], v[20:21], v[6:7]
	v_fma_f64 v[20:21], v[253:254], s[38:39], v[186:187]
	v_mul_f64 v[6:7], v[174:175], s[30:31]
	s_waitcnt vmcnt(0)
	s_barrier
	v_add_f64 v[8:9], v[22:23], v[8:9]
	v_add_f64 v[10:11], v[20:21], v[10:11]
	v_fma_f64 v[22:23], v[249:250], s[28:29], -v[62:63]
	v_fma_f64 v[62:63], v[176:177], s[42:43], v[156:157]
	v_fma_f64 v[156:157], v[249:250], s[36:37], -v[158:159]
	v_fma_f64 v[158:159], v[176:177], s[54:55], v[162:163]
	v_fma_f64 v[20:21], v[193:194], s[24:25], -v[160:161]
	v_add_f64 v[164:165], v[22:23], v[12:13]
	v_add_f64 v[166:167], v[62:63], v[16:17]
	v_fma_f64 v[16:17], v[176:177], s[30:31], v[180:181]
	v_mul_f64 v[12:13], v[195:196], s[24:25]
	v_add_f64 v[156:157], v[156:157], v[14:15]
	v_fma_f64 v[14:15], v[249:250], s[24:25], -v[6:7]
	v_add_f64 v[158:159], v[158:159], v[18:19]
	v_add_f64 v[18:19], v[96:97], v[20:21]
	v_mul_f64 v[20:21], v[207:208], s[40:41]
	v_add_f64 v[162:163], v[16:17], v[10:11]
	v_fma_f64 v[10:11], v[211:212], s[30:31], v[12:13]
	v_mul_f64 v[16:17], v[201:202], s[18:19]
	v_add_f64 v[160:161], v[14:15], v[8:9]
	v_fma_f64 v[8:9], v[199:200], s[18:19], -v[182:183]
	v_add_f64 v[10:11], v[98:99], v[10:11]
	v_fma_f64 v[14:15], v[223:224], s[48:49], v[16:17]
	v_add_f64 v[8:9], v[8:9], v[18:19]
	v_mul_f64 v[18:19], v[215:216], s[28:29]
	v_add_f64 v[10:11], v[14:15], v[10:11]
	v_fma_f64 v[14:15], v[205:206], s[40:41], -v[190:191]
	v_add_f64 v[8:9], v[14:15], v[8:9]
	v_fma_f64 v[14:15], v[217:218], s[38:39], v[20:21]
	v_add_f64 v[10:11], v[14:15], v[10:11]
	v_fma_f64 v[14:15], v[213:214], s[28:29], -v[188:189]
	v_add_f64 v[14:15], v[14:15], v[8:9]
	v_fma_f64 v[8:9], v[227:228], s[42:43], v[18:19]
	v_add_f64 v[10:11], v[8:9], v[10:11]
	v_mul_f64 v[8:9], v[229:230], s[62:63]
	v_fma_f64 v[22:23], v[221:222], s[10:11], -v[8:9]
	v_add_f64 v[14:15], v[22:23], v[14:15]
	v_mul_f64 v[22:23], v[225:226], s[10:11]
	v_fma_f64 v[62:63], v[235:236], s[62:63], v[22:23]
	v_add_f64 v[62:63], v[62:63], v[10:11]
	v_mul_f64 v[10:11], v[241:242], s[52:53]
	v_fma_f64 v[168:169], v[231:232], s[36:37], -v[10:11]
	v_add_f64 v[168:169], v[168:169], v[14:15]
	v_fma_f64 v[14:15], v[245:246], s[52:53], v[172:173]
	v_add_f64 v[62:63], v[14:15], v[62:63]
	v_mul_f64 v[14:15], v[251:252], s[34:35]
	v_fma_f64 v[170:171], v[237:238], s[22:23], -v[14:15]
	v_add_f64 v[168:169], v[170:171], v[168:169]
	v_fma_f64 v[170:171], v[253:254], s[34:35], v[184:185]
	v_add_f64 v[62:63], v[170:171], v[62:63]
	v_fma_f64 v[170:171], v[249:250], s[8:9], -v[243:244]
	v_add_f64 v[168:169], v[170:171], v[168:169]
	v_fma_f64 v[170:171], v[176:177], s[58:59], v[178:179]
	v_add_f64 v[170:171], v[170:171], v[62:63]
	s_and_saveexec_b64 s[46:47], s[0:1]
	s_cbranch_execz .LBB0_17
; %bb.16:
	v_mul_f64 v[62:63], v[211:212], s[34:35]
	buffer_store_dword v0, off, s[64:67], 0 offset:604 ; 4-byte Folded Spill
	s_nop 0
	buffer_store_dword v1, off, s[64:67], 0 offset:608 ; 4-byte Folded Spill
	buffer_store_dword v28, off, s[64:67], 0 offset:524 ; 4-byte Folded Spill
	s_nop 0
	buffer_store_dword v29, off, s[64:67], 0 offset:528 ; 4-byte Folded Spill
	buffer_store_dword v30, off, s[64:67], 0 offset:532 ; 4-byte Folded Spill
	;; [unrolled: 1-line block ×3, first 2 shown]
	v_mul_f64 v[28:29], v[223:224], s[50:51]
	buffer_store_dword v32, off, s[64:67], 0 offset:540 ; 4-byte Folded Spill
	s_nop 0
	buffer_store_dword v33, off, s[64:67], 0 offset:544 ; 4-byte Folded Spill
	buffer_store_dword v34, off, s[64:67], 0 offset:548 ; 4-byte Folded Spill
	;; [unrolled: 1-line block ×3, first 2 shown]
	v_mul_f64 v[34:35], v[203:204], s[50:51]
	buffer_store_dword v36, off, s[64:67], 0 offset:644 ; 4-byte Folded Spill
	s_nop 0
	buffer_store_dword v37, off, s[64:67], 0 offset:648 ; 4-byte Folded Spill
	buffer_store_dword v38, off, s[64:67], 0 offset:636 ; 4-byte Folded Spill
	s_nop 0
	buffer_store_dword v39, off, s[64:67], 0 offset:640 ; 4-byte Folded Spill
	v_fma_f64 v[0:1], v[195:196], s[22:23], v[62:63]
	buffer_store_dword v40, off, s[64:67], 0 offset:668 ; 4-byte Folded Spill
	s_nop 0
	buffer_store_dword v41, off, s[64:67], 0 offset:672 ; 4-byte Folded Spill
	buffer_store_dword v42, off, s[64:67], 0 offset:612 ; 4-byte Folded Spill
	s_nop 0
	buffer_store_dword v43, off, s[64:67], 0 offset:616 ; 4-byte Folded Spill
	v_fma_f64 v[30:31], v[201:202], s[40:41], v[28:29]
	buffer_store_dword v44, off, s[64:67], 0 offset:660 ; 4-byte Folded Spill
	s_nop 0
	buffer_store_dword v45, off, s[64:67], 0 offset:664 ; 4-byte Folded Spill
	v_fma_f64 v[36:37], v[199:200], s[40:41], -v[34:35]
	buffer_store_dword v46, off, s[64:67], 0 offset:476 ; 4-byte Folded Spill
	s_nop 0
	buffer_store_dword v47, off, s[64:67], 0 offset:480 ; 4-byte Folded Spill
	buffer_store_dword v48, off, s[64:67], 0 offset:484 ; 4-byte Folded Spill
	;; [unrolled: 1-line block ×4, first 2 shown]
	s_nop 0
	buffer_store_dword v51, off, s[64:67], 0 offset:496 ; 4-byte Folded Spill
	buffer_store_dword v52, off, s[64:67], 0 offset:500 ; 4-byte Folded Spill
	;; [unrolled: 1-line block ×3, first 2 shown]
	v_add_f64 v[0:1], v[98:99], v[0:1]
	buffer_store_dword v54, off, s[64:67], 0 offset:628 ; 4-byte Folded Spill
	s_nop 0
	buffer_store_dword v55, off, s[64:67], 0 offset:632 ; 4-byte Folded Spill
	buffer_store_dword v56, off, s[64:67], 0 offset:508 ; 4-byte Folded Spill
	s_nop 0
	buffer_store_dword v57, off, s[64:67], 0 offset:512 ; 4-byte Folded Spill
	buffer_store_dword v58, off, s[64:67], 0 offset:516 ; 4-byte Folded Spill
	;; [unrolled: 1-line block ×4, first 2 shown]
	s_nop 0
	buffer_store_dword v27, off, s[64:67], 0 offset:656 ; 4-byte Folded Spill
	buffer_store_dword v24, off, s[64:67], 0 offset:620 ; 4-byte Folded Spill
	s_nop 0
	buffer_store_dword v25, off, s[64:67], 0 offset:624 ; 4-byte Folded Spill
	v_fma_f64 v[28:29], v[201:202], s[40:41], -v[28:29]
	v_add_f64 v[0:1], v[30:31], v[0:1]
	v_mul_f64 v[30:31], v[197:198], s[34:35]
	v_fma_f64 v[32:33], v[193:194], s[22:23], -v[30:31]
	v_fma_f64 v[30:31], v[193:194], s[22:23], v[30:31]
	v_add_f64 v[32:33], v[96:97], v[32:33]
	v_add_f64 v[30:31], v[96:97], v[30:31]
	;; [unrolled: 1-line block ×3, first 2 shown]
	v_mul_f64 v[36:37], v[217:218], s[42:43]
	v_fma_f64 v[38:39], v[207:208], s[28:29], v[36:37]
	v_add_f64 v[0:1], v[38:39], v[0:1]
	v_mul_f64 v[38:39], v[209:210], s[42:43]
	v_fma_f64 v[40:41], v[205:206], s[28:29], -v[38:39]
	v_add_f64 v[32:33], v[40:41], v[32:33]
	v_mul_f64 v[40:41], v[227:228], s[54:55]
	v_fma_f64 v[42:43], v[215:216], s[36:37], v[40:41]
	v_add_f64 v[0:1], v[42:43], v[0:1]
	v_mul_f64 v[42:43], v[219:220], s[54:55]
	v_fma_f64 v[44:45], v[213:214], s[36:37], -v[42:43]
	v_add_f64 v[32:33], v[44:45], v[32:33]
	;; [unrolled: 6-line block ×5, first 2 shown]
	v_mul_f64 v[56:57], v[176:177], s[62:63]
	v_fma_f64 v[58:59], v[247:248], s[10:11], v[56:57]
	v_add_f64 v[26:27], v[58:59], v[0:1]
	v_mul_f64 v[0:1], v[174:175], s[62:63]
	v_fma_f64 v[58:59], v[249:250], s[10:11], -v[0:1]
	v_fma_f64 v[0:1], v[249:250], s[10:11], v[0:1]
	v_add_f64 v[24:25], v[58:59], v[32:33]
	v_fma_f64 v[32:33], v[195:196], s[22:23], -v[62:63]
	buffer_store_dword v24, off, s[64:67], 0 offset:556 ; 4-byte Folded Spill
	s_nop 0
	buffer_store_dword v25, off, s[64:67], 0 offset:560 ; 4-byte Folded Spill
	buffer_store_dword v26, off, s[64:67], 0 offset:564 ; 4-byte Folded Spill
	;; [unrolled: 1-line block ×3, first 2 shown]
	v_add_f64 v[32:33], v[98:99], v[32:33]
	v_add_f64 v[28:29], v[28:29], v[32:33]
	v_fma_f64 v[32:33], v[199:200], s[40:41], v[34:35]
	v_add_f64 v[30:31], v[32:33], v[30:31]
	v_fma_f64 v[32:33], v[207:208], s[28:29], -v[36:37]
	v_add_f64 v[28:29], v[32:33], v[28:29]
	v_fma_f64 v[32:33], v[205:206], s[28:29], v[38:39]
	v_add_f64 v[30:31], v[32:33], v[30:31]
	v_fma_f64 v[32:33], v[215:216], s[36:37], -v[40:41]
	;; [unrolled: 4-line block ×3, first 2 shown]
	v_add_f64 v[28:29], v[32:33], v[28:29]
	v_fma_f64 v[32:33], v[221:222], s[24:25], v[46:47]
	v_mul_f64 v[46:47], v[203:204], s[58:59]
	v_add_f64 v[30:31], v[32:33], v[30:31]
	v_fma_f64 v[32:33], v[233:234], s[8:9], -v[48:49]
	v_fma_f64 v[48:49], v[199:200], s[8:9], -v[46:47]
	v_add_f64 v[28:29], v[32:33], v[28:29]
	v_fma_f64 v[32:33], v[239:240], s[18:19], -v[52:53]
	v_add_f64 v[28:29], v[32:33], v[28:29]
	v_fma_f64 v[32:33], v[231:232], s[8:9], v[50:51]
	v_add_f64 v[30:31], v[32:33], v[30:31]
	v_fma_f64 v[32:33], v[237:238], s[18:19], v[54:55]
	v_add_f64 v[30:31], v[32:33], v[30:31]
	v_fma_f64 v[32:33], v[247:248], s[10:11], -v[56:57]
	v_add_f64 v[24:25], v[0:1], v[30:31]
	v_mul_f64 v[0:1], v[211:212], s[42:43]
	v_add_f64 v[26:27], v[32:33], v[28:29]
	v_mul_f64 v[30:31], v[223:224], s[58:59]
	buffer_store_dword v24, off, s[64:67], 0 offset:572 ; 4-byte Folded Spill
	s_nop 0
	buffer_store_dword v25, off, s[64:67], 0 offset:576 ; 4-byte Folded Spill
	buffer_store_dword v26, off, s[64:67], 0 offset:580 ; 4-byte Folded Spill
	;; [unrolled: 1-line block ×3, first 2 shown]
	v_fma_f64 v[28:29], v[195:196], s[28:29], v[0:1]
	v_fma_f64 v[32:33], v[201:202], s[8:9], v[30:31]
	v_fma_f64 v[0:1], v[195:196], s[28:29], -v[0:1]
	v_fma_f64 v[30:31], v[201:202], s[8:9], -v[30:31]
	v_add_f64 v[28:29], v[98:99], v[28:29]
	v_add_f64 v[0:1], v[98:99], v[0:1]
	;; [unrolled: 1-line block ×3, first 2 shown]
	v_mul_f64 v[32:33], v[217:218], s[20:21]
	v_add_f64 v[0:1], v[30:31], v[0:1]
	v_fma_f64 v[34:35], v[207:208], s[10:11], v[32:33]
	v_fma_f64 v[30:31], v[207:208], s[10:11], -v[32:33]
	v_fma_f64 v[32:33], v[199:200], s[8:9], v[46:47]
	v_add_f64 v[28:29], v[34:35], v[28:29]
	v_mul_f64 v[34:35], v[227:228], s[60:61]
	v_add_f64 v[0:1], v[30:31], v[0:1]
	v_fma_f64 v[36:37], v[215:216], s[24:25], v[34:35]
	v_fma_f64 v[30:31], v[215:216], s[24:25], -v[34:35]
	v_add_f64 v[28:29], v[36:37], v[28:29]
	v_mul_f64 v[36:37], v[235:236], s[38:39]
	v_add_f64 v[0:1], v[30:31], v[0:1]
	v_fma_f64 v[38:39], v[225:226], s[40:41], v[36:37]
	v_fma_f64 v[30:31], v[225:226], s[40:41], -v[36:37]
	;; [unrolled: 5-line block ×4, first 2 shown]
	v_add_f64 v[28:29], v[42:43], v[28:29]
	v_mul_f64 v[42:43], v[197:198], s[42:43]
	v_add_f64 v[0:1], v[30:31], v[0:1]
	v_fma_f64 v[44:45], v[193:194], s[28:29], -v[42:43]
	v_fma_f64 v[30:31], v[193:194], s[28:29], v[42:43]
	v_add_f64 v[44:45], v[96:97], v[44:45]
	v_add_f64 v[30:31], v[96:97], v[30:31]
	;; [unrolled: 1-line block ×3, first 2 shown]
	v_mul_f64 v[48:49], v[209:210], s[20:21]
	v_add_f64 v[30:31], v[32:33], v[30:31]
	v_fma_f64 v[50:51], v[205:206], s[10:11], -v[48:49]
	v_fma_f64 v[32:33], v[205:206], s[10:11], v[48:49]
	v_add_f64 v[44:45], v[50:51], v[44:45]
	v_mul_f64 v[50:51], v[219:220], s[60:61]
	v_add_f64 v[30:31], v[32:33], v[30:31]
	v_fma_f64 v[52:53], v[213:214], s[24:25], -v[50:51]
	v_fma_f64 v[32:33], v[213:214], s[24:25], v[50:51]
	v_add_f64 v[44:45], v[52:53], v[44:45]
	;; [unrolled: 5-line block ×5, first 2 shown]
	v_mul_f64 v[58:59], v[176:177], s[26:27]
	v_add_f64 v[30:31], v[32:33], v[30:31]
	v_fma_f64 v[62:63], v[247:248], s[18:19], v[58:59]
	v_fma_f64 v[32:33], v[247:248], s[18:19], -v[58:59]
	v_add_f64 v[26:27], v[62:63], v[28:29]
	v_mul_f64 v[28:29], v[174:175], s[26:27]
	v_fma_f64 v[62:63], v[249:250], s[18:19], -v[28:29]
	v_fma_f64 v[28:29], v[249:250], s[18:19], v[28:29]
	v_add_f64 v[24:25], v[62:63], v[44:45]
	buffer_store_dword v24, off, s[64:67], 0 offset:588 ; 4-byte Folded Spill
	s_nop 0
	buffer_store_dword v25, off, s[64:67], 0 offset:592 ; 4-byte Folded Spill
	buffer_store_dword v26, off, s[64:67], 0 offset:596 ; 4-byte Folded Spill
	;; [unrolled: 1-line block ×3, first 2 shown]
	v_add_f64 v[26:27], v[32:33], v[0:1]
	v_mul_f64 v[0:1], v[217:218], s[38:39]
	v_add_f64 v[24:25], v[28:29], v[30:31]
	v_add_f64 v[0:1], v[20:21], -v[0:1]
	v_mul_f64 v[20:21], v[211:212], s[30:31]
	v_add_f64 v[12:13], v[12:13], -v[20:21]
	v_mul_f64 v[20:21], v[223:224], s[48:49]
	v_add_f64 v[12:13], v[98:99], v[12:13]
	v_add_f64 v[16:17], v[16:17], -v[20:21]
	buffer_load_dword v20, off, s[64:67], 0 offset:380 ; 4-byte Folded Reload
	buffer_load_dword v21, off, s[64:67], 0 offset:384 ; 4-byte Folded Reload
	v_add_f64 v[12:13], v[16:17], v[12:13]
	v_mul_f64 v[16:17], v[227:228], s[42:43]
	v_add_f64 v[0:1], v[0:1], v[12:13]
	v_add_f64 v[16:17], v[18:19], -v[16:17]
	v_mul_f64 v[12:13], v[235:236], s[62:63]
	v_mul_f64 v[18:19], v[193:194], s[24:25]
	v_add_f64 v[0:1], v[16:17], v[0:1]
	v_add_f64 v[12:13], v[22:23], -v[12:13]
	v_mul_f64 v[16:17], v[245:246], s[52:53]
	v_add_f64 v[0:1], v[12:13], v[0:1]
	v_add_f64 v[16:17], v[172:173], -v[16:17]
	;; [unrolled: 3-line block ×3, first 2 shown]
	v_mul_f64 v[16:17], v[176:177], s[58:59]
	v_add_f64 v[0:1], v[12:13], v[0:1]
	v_mul_f64 v[12:13], v[205:206], s[40:41]
	v_add_f64 v[16:17], v[178:179], -v[16:17]
	v_add_f64 v[12:13], v[12:13], v[190:191]
	v_add_f64 v[184:185], v[16:17], v[0:1]
	v_mul_f64 v[0:1], v[176:177], s[30:31]
	v_add_f64 v[0:1], v[180:181], -v[0:1]
	s_waitcnt vmcnt(0)
	v_add_f64 v[18:19], v[18:19], v[20:21]
	v_mul_f64 v[20:21], v[199:200], s[18:19]
	v_add_f64 v[18:19], v[96:97], v[18:19]
	v_add_f64 v[20:21], v[20:21], v[182:183]
	;; [unrolled: 1-line block ×3, first 2 shown]
	v_mul_f64 v[20:21], v[213:214], s[28:29]
	v_add_f64 v[12:13], v[12:13], v[18:19]
	v_add_f64 v[20:21], v[20:21], v[188:189]
	v_mul_f64 v[18:19], v[221:222], s[10:11]
	v_add_f64 v[12:13], v[20:21], v[12:13]
	v_add_f64 v[8:9], v[18:19], v[8:9]
	;; [unrolled: 3-line block ×5, first 2 shown]
	v_add_f64 v[182:183], v[10:11], v[8:9]
	buffer_load_dword v10, off, s[64:67], 0 offset:404 ; 4-byte Folded Reload
	buffer_load_dword v11, off, s[64:67], 0 offset:408 ; 4-byte Folded Reload
	;; [unrolled: 1-line block ×6, first 2 shown]
	v_mul_f64 v[8:9], v[217:218], s[54:55]
	s_waitcnt vmcnt(4)
	v_add_f64 v[8:9], v[10:11], -v[8:9]
	v_mul_f64 v[10:11], v[211:212], s[26:27]
	s_waitcnt vmcnt(2)
	v_add_f64 v[10:11], v[12:13], -v[10:11]
	v_mul_f64 v[12:13], v[223:224], s[44:45]
	v_add_f64 v[10:11], v[98:99], v[10:11]
	s_waitcnt vmcnt(0)
	v_add_f64 v[12:13], v[14:15], -v[12:13]
	buffer_load_dword v14, off, s[64:67], 0 offset:436 ; 4-byte Folded Reload
	buffer_load_dword v15, off, s[64:67], 0 offset:440 ; 4-byte Folded Reload
	v_add_f64 v[10:11], v[12:13], v[10:11]
	v_mul_f64 v[12:13], v[227:228], s[16:17]
	v_add_f64 v[8:9], v[8:9], v[10:11]
	v_mul_f64 v[10:11], v[235:236], s[34:35]
	s_waitcnt vmcnt(0)
	v_add_f64 v[12:13], v[14:15], -v[12:13]
	buffer_load_dword v14, off, s[64:67], 0 offset:460 ; 4-byte Folded Reload
	buffer_load_dword v15, off, s[64:67], 0 offset:464 ; 4-byte Folded Reload
	v_add_f64 v[8:9], v[12:13], v[8:9]
	v_mul_f64 v[12:13], v[245:246], s[62:63]
	v_add_f64 v[4:5], v[4:5], -v[12:13]
	buffer_load_dword v12, off, s[64:67], 0 offset:356 ; 4-byte Folded Reload
	buffer_load_dword v13, off, s[64:67], 0 offset:360 ; 4-byte Folded Reload
	s_waitcnt vmcnt(2)
	v_add_f64 v[10:11], v[14:15], -v[10:11]
	buffer_load_dword v14, off, s[64:67], 0 offset:236 ; 4-byte Folded Reload
	buffer_load_dword v15, off, s[64:67], 0 offset:240 ; 4-byte Folded Reload
	;; [unrolled: 1-line block ×4, first 2 shown]
	v_add_f64 v[8:9], v[10:11], v[8:9]
	v_mul_f64 v[10:11], v[253:254], s[38:39]
	v_add_f64 v[4:5], v[4:5], v[8:9]
	v_mul_f64 v[8:9], v[205:206], s[36:37]
	v_add_f64 v[10:11], v[186:187], -v[10:11]
	s_waitcnt vmcnt(4)
	v_add_f64 v[8:9], v[8:9], v[12:13]
	v_mul_f64 v[12:13], v[193:194], s[18:19]
	v_add_f64 v[4:5], v[10:11], v[4:5]
	v_mul_f64 v[10:11], v[249:250], s[24:25]
	;; [unrolled: 2-line block ×3, first 2 shown]
	s_waitcnt vmcnt(2)
	v_add_f64 v[12:13], v[12:13], v[14:15]
	v_mul_f64 v[14:15], v[199:200], s[28:29]
	v_add_f64 v[12:13], v[96:97], v[12:13]
	s_waitcnt vmcnt(0)
	v_add_f64 v[14:15], v[14:15], v[16:17]
	buffer_load_dword v16, off, s[64:67], 0 offset:420 ; 4-byte Folded Reload
	buffer_load_dword v17, off, s[64:67], 0 offset:424 ; 4-byte Folded Reload
	v_add_f64 v[12:13], v[14:15], v[12:13]
	v_mul_f64 v[14:15], v[213:214], s[8:9]
	v_add_f64 v[8:9], v[8:9], v[12:13]
	v_mul_f64 v[12:13], v[221:222], s[22:23]
	s_waitcnt vmcnt(0)
	v_add_f64 v[14:15], v[14:15], v[16:17]
	buffer_load_dword v16, off, s[64:67], 0 offset:444 ; 4-byte Folded Reload
	buffer_load_dword v17, off, s[64:67], 0 offset:448 ; 4-byte Folded Reload
	v_add_f64 v[8:9], v[14:15], v[8:9]
	v_mul_f64 v[14:15], v[231:232], s[10:11]
	s_waitcnt vmcnt(0)
	v_add_f64 v[12:13], v[12:13], v[16:17]
	buffer_load_dword v16, off, s[64:67], 0 offset:468 ; 4-byte Folded Reload
	buffer_load_dword v17, off, s[64:67], 0 offset:472 ; 4-byte Folded Reload
	;; [unrolled: 1-line block ×20, first 2 shown]
	v_add_f64 v[8:9], v[12:13], v[8:9]
	v_mul_f64 v[12:13], v[237:238], s[40:41]
	buffer_load_dword v40, off, s[64:67], 0 offset:244 ; 4-byte Folded Reload
	buffer_load_dword v41, off, s[64:67], 0 offset:248 ; 4-byte Folded Reload
	;; [unrolled: 1-line block ×14, first 2 shown]
	v_add_f64 v[2:3], v[12:13], v[2:3]
	v_mul_f64 v[12:13], v[217:218], s[48:49]
	buffer_load_dword v54, off, s[64:67], 0 offset:428 ; 4-byte Folded Reload
	buffer_load_dword v55, off, s[64:67], 0 offset:432 ; 4-byte Folded Reload
	s_waitcnt vmcnt(34)
	v_add_f64 v[14:15], v[14:15], v[16:17]
	v_mul_f64 v[16:17], v[211:212], s[20:21]
	s_waitcnt vmcnt(28)
	v_add_f64 v[12:13], v[22:23], -v[12:13]
	v_mul_f64 v[22:23], v[211:212], s[16:17]
	s_waitcnt vmcnt(24)
	v_add_f64 v[10:11], v[10:11], v[30:31]
	v_mul_f64 v[30:31], v[199:200], s[24:25]
	v_add_f64 v[8:9], v[14:15], v[8:9]
	v_add_f64 v[16:17], v[18:19], -v[16:17]
	v_mul_f64 v[18:19], v[223:224], s[34:35]
	v_mul_f64 v[14:15], v[227:228], s[50:51]
	v_add_f64 v[10:11], v[96:97], v[10:11]
	s_waitcnt vmcnt(10)
	v_add_f64 v[22:23], v[44:45], -v[22:23]
	v_mul_f64 v[44:45], v[235:236], s[54:55]
	v_add_f64 v[8:9], v[2:3], v[8:9]
	v_add_f64 v[16:17], v[98:99], v[16:17]
	v_add_f64 v[18:19], v[20:21], -v[18:19]
	v_mul_f64 v[2:3], v[235:236], s[16:17]
	v_add_f64 v[14:15], v[28:29], -v[14:15]
	v_mul_f64 v[28:29], v[199:200], s[22:23]
	v_add_f64 v[22:23], v[98:99], v[22:23]
	v_mul_f64 v[20:21], v[193:194], s[8:9]
	v_add_f64 v[16:17], v[18:19], v[16:17]
	v_mul_f64 v[18:19], v[253:254], s[60:61]
	v_add_f64 v[2:3], v[34:35], -v[2:3]
	v_add_f64 v[28:29], v[28:29], v[36:37]
	v_mul_f64 v[34:35], v[205:206], s[18:19]
	v_mul_f64 v[36:37], v[205:206], s[22:23]
	v_add_f64 v[12:13], v[12:13], v[16:17]
	v_add_f64 v[18:19], v[32:33], -v[18:19]
	v_mul_f64 v[32:33], v[245:246], s[42:43]
	v_add_f64 v[10:11], v[28:29], v[10:11]
	v_mul_f64 v[28:29], v[227:228], s[48:49]
	v_mul_f64 v[16:17], v[223:224], s[30:31]
	v_add_f64 v[34:35], v[34:35], v[40:41]
	v_mul_f64 v[40:41], v[213:214], s[18:19]
	v_add_f64 v[12:13], v[14:15], v[12:13]
	v_mul_f64 v[14:15], v[213:214], s[40:41]
	v_add_f64 v[32:33], v[38:39], -v[32:33]
	v_mul_f64 v[38:39], v[217:218], s[56:57]
	s_waitcnt vmcnt(6)
	v_add_f64 v[16:17], v[48:49], -v[16:17]
	v_add_f64 v[10:11], v[34:35], v[10:11]
	v_mul_f64 v[34:35], v[231:232], s[40:41]
	v_add_f64 v[2:3], v[2:3], v[12:13]
	v_add_f64 v[14:15], v[14:15], v[42:43]
	v_mul_f64 v[12:13], v[221:222], s[8:9]
	s_waitcnt vmcnt(2)
	v_add_f64 v[38:39], v[52:53], -v[38:39]
	v_mul_f64 v[52:53], v[237:238], s[24:25]
	v_add_f64 v[16:17], v[16:17], v[22:23]
	v_mul_f64 v[42:43], v[221:222], s[36:37]
	v_mul_f64 v[48:49], v[237:238], s[10:11]
	v_add_f64 v[2:3], v[32:33], v[2:3]
	v_add_f64 v[10:11], v[14:15], v[10:11]
	v_mul_f64 v[14:15], v[176:177], s[54:55]
	v_add_f64 v[12:13], v[12:13], v[46:47]
	v_mul_f64 v[32:33], v[231:232], s[28:29]
	;; [unrolled: 2-line block ×3, first 2 shown]
	v_mul_f64 v[22:23], v[249:250], s[28:29]
	v_add_f64 v[18:19], v[18:19], v[2:3]
	buffer_load_dword v2, off, s[64:67], 0 offset:652 ; 4-byte Folded Reload
	buffer_load_dword v3, off, s[64:67], 0 offset:656 ; 4-byte Folded Reload
	s_waitcnt vmcnt(2)
	v_add_f64 v[14:15], v[54:55], -v[14:15]
	v_add_f64 v[10:11], v[12:13], v[10:11]
	v_mul_f64 v[12:13], v[176:177], s[42:43]
	v_add_f64 v[32:33], v[32:33], v[50:51]
	v_mul_f64 v[50:51], v[253:254], s[20:21]
	v_mul_f64 v[54:55], v[249:250], s[36:37]
	v_add_f64 v[10:11], v[32:33], v[10:11]
	s_waitcnt vmcnt(0)
	v_add_f64 v[28:29], v[2:3], -v[28:29]
	buffer_load_dword v2, off, s[64:67], 0 offset:388 ; 4-byte Folded Reload
	buffer_load_dword v3, off, s[64:67], 0 offset:392 ; 4-byte Folded Reload
	s_waitcnt vmcnt(0)
	v_add_f64 v[38:39], v[52:53], v[2:3]
	v_add_f64 v[2:3], v[0:1], v[4:5]
	;; [unrolled: 1-line block ×4, first 2 shown]
	buffer_load_dword v4, off, s[64:67], 0 offset:260 ; 4-byte Folded Reload
	buffer_load_dword v5, off, s[64:67], 0 offset:264 ; 4-byte Folded Reload
	v_add_f64 v[14:15], v[28:29], v[16:17]
	buffer_load_dword v16, off, s[64:67], 0 offset:396 ; 4-byte Folded Reload
	buffer_load_dword v17, off, s[64:67], 0 offset:400 ; 4-byte Folded Reload
	;; [unrolled: 1-line block ×4, first 2 shown]
	v_add_f64 v[10:11], v[38:39], v[10:11]
	v_mul_f64 v[8:9], v[211:212], s[52:53]
	v_mul_f64 v[28:29], v[223:224], s[20:21]
	v_fma_f64 v[32:33], v[195:196], s[36:37], v[8:9]
	v_add_f64 v[32:33], v[98:99], v[32:33]
	s_waitcnt vmcnt(4)
	v_add_f64 v[4:5], v[4:5], -v[44:45]
	v_mul_f64 v[44:45], v[217:218], s[30:31]
	s_waitcnt vmcnt(2)
	v_add_f64 v[16:17], v[54:55], v[16:17]
	s_waitcnt vmcnt(0)
	v_add_f64 v[12:13], v[18:19], -v[12:13]
	buffer_load_dword v18, off, s[64:67], 0 offset:644 ; 4-byte Folded Reload
	buffer_load_dword v19, off, s[64:67], 0 offset:648 ; 4-byte Folded Reload
	v_add_f64 v[4:5], v[4:5], v[14:15]
	v_fma_f64 v[52:53], v[207:208], s[24:25], v[44:45]
	s_waitcnt vmcnt(0)
	v_add_f64 v[18:19], v[20:21], v[18:19]
	buffer_load_dword v20, off, s[64:67], 0 offset:276 ; 4-byte Folded Reload
	buffer_load_dword v21, off, s[64:67], 0 offset:280 ; 4-byte Folded Reload
	;; [unrolled: 1-line block ×6, first 2 shown]
	v_add_f64 v[18:19], v[96:97], v[18:19]
	s_waitcnt vmcnt(4)
	v_add_f64 v[20:21], v[20:21], -v[46:47]
	v_fma_f64 v[46:47], v[201:202], s[10:11], v[28:29]
	s_waitcnt vmcnt(0)
	v_add_f64 v[30:31], v[30:31], v[38:39]
	v_mul_f64 v[38:39], v[197:198], s[52:53]
	v_add_f64 v[14:15], v[14:15], -v[50:51]
	v_add_f64 v[4:5], v[20:21], v[4:5]
	buffer_load_dword v20, off, s[64:67], 0 offset:612 ; 4-byte Folded Reload
	buffer_load_dword v21, off, s[64:67], 0 offset:616 ; 4-byte Folded Reload
	v_add_f64 v[18:19], v[30:31], v[18:19]
	v_mul_f64 v[30:31], v[227:228], s[34:35]
	v_add_f64 v[32:33], v[46:47], v[32:33]
	buffer_load_dword v46, off, s[64:67], 0 offset:628 ; 4-byte Folded Reload
	buffer_load_dword v47, off, s[64:67], 0 offset:632 ; 4-byte Folded Reload
	v_fma_f64 v[50:51], v[193:194], s[36:37], -v[38:39]
	v_add_f64 v[14:15], v[14:15], v[4:5]
	v_fma_f64 v[56:57], v[215:216], s[22:23], v[30:31]
	v_add_f64 v[32:33], v[52:53], v[32:33]
	buffer_load_dword v52, off, s[64:67], 0 offset:204 ; 4-byte Folded Reload
	buffer_load_dword v53, off, s[64:67], 0 offset:208 ; 4-byte Folded Reload
	v_add_f64 v[50:51], v[96:97], v[50:51]
	v_fma_f64 v[30:31], v[215:216], s[22:23], -v[30:31]
	v_add_f64 v[32:33], v[56:57], v[32:33]
	buffer_load_dword v56, off, s[64:67], 0 offset:620 ; 4-byte Folded Reload
	buffer_load_dword v57, off, s[64:67], 0 offset:624 ; 4-byte Folded Reload
	s_waitcnt vmcnt(6)
	v_add_f64 v[20:21], v[36:37], v[20:21]
	v_mul_f64 v[36:37], v[203:204], s[20:21]
	s_waitcnt vmcnt(4)
	v_add_f64 v[40:41], v[40:41], v[46:47]
	v_mul_f64 v[46:47], v[209:210], s[30:31]
	v_add_f64 v[18:19], v[20:21], v[18:19]
	v_fma_f64 v[54:55], v[199:200], s[10:11], -v[36:37]
	v_mul_f64 v[20:21], v[235:236], s[44:45]
	v_fma_f64 v[36:37], v[199:200], s[10:11], v[36:37]
	s_waitcnt vmcnt(2)
	v_add_f64 v[42:43], v[42:43], v[52:53]
	v_mul_f64 v[52:53], v[219:220], s[34:35]
	v_fma_f64 v[58:59], v[205:206], s[24:25], -v[46:47]
	v_add_f64 v[18:19], v[40:41], v[18:19]
	v_add_f64 v[50:51], v[54:55], v[50:51]
	v_fma_f64 v[54:55], v[225:226], s[28:29], v[20:21]
	v_mul_f64 v[40:41], v[245:246], s[48:49]
	s_waitcnt vmcnt(0)
	v_add_f64 v[34:35], v[34:35], v[56:57]
	v_mul_f64 v[56:57], v[229:230], s[44:45]
	v_fma_f64 v[62:63], v[213:214], s[22:23], -v[52:53]
	v_fma_f64 v[20:21], v[225:226], s[28:29], -v[20:21]
	v_add_f64 v[18:19], v[42:43], v[18:19]
	v_add_f64 v[50:51], v[58:59], v[50:51]
	v_add_f64 v[32:33], v[54:55], v[32:33]
	buffer_load_dword v54, off, s[64:67], 0 offset:604 ; 4-byte Folded Reload
	buffer_load_dword v55, off, s[64:67], 0 offset:608 ; 4-byte Folded Reload
	v_mul_f64 v[42:43], v[253:254], s[58:59]
	v_fma_f64 v[172:173], v[221:222], s[28:29], -v[56:57]
	v_fma_f64 v[58:59], v[233:234], s[18:19], v[40:41]
	v_add_f64 v[18:19], v[34:35], v[18:19]
	v_add_f64 v[50:51], v[62:63], v[50:51]
	v_mul_f64 v[34:35], v[176:177], s[50:51]
	v_fma_f64 v[62:63], v[239:240], s[8:9], v[42:43]
	v_add_f64 v[32:33], v[58:59], v[32:33]
	v_mul_f64 v[58:59], v[251:252], s[58:59]
	v_add_f64 v[50:51], v[172:173], v[50:51]
	buffer_load_dword v172, off, s[64:67], 0 offset:284 ; 4-byte Folded Reload
	buffer_load_dword v173, off, s[64:67], 0 offset:288 ; 4-byte Folded Reload
	v_add_f64 v[32:33], v[62:63], v[32:33]
	v_fma_f64 v[178:179], v[237:238], s[8:9], -v[58:59]
	v_mul_f64 v[62:63], v[174:175], s[50:51]
	s_waitcnt vmcnt(2)
	v_add_f64 v[48:49], v[48:49], v[54:55]
	v_mul_f64 v[54:55], v[241:242], s[48:49]
	v_add_f64 v[18:19], v[48:49], v[18:19]
	v_fma_f64 v[4:5], v[231:232], s[18:19], -v[54:55]
	v_fma_f64 v[48:49], v[247:248], s[40:41], v[34:35]
	s_waitcnt vmcnt(0)
	v_add_f64 v[22:23], v[22:23], v[172:173]
	v_fma_f64 v[172:173], v[195:196], s[36:37], -v[8:9]
	v_add_f64 v[50:51], v[4:5], v[50:51]
	v_add_f64 v[4:5], v[16:17], v[10:11]
	v_add_f64 v[10:11], v[12:13], v[14:15]
	v_fma_f64 v[12:13], v[201:202], s[10:11], -v[28:29]
	v_add_f64 v[14:15], v[48:49], v[32:33]
	v_add_f64 v[48:49], v[96:97], v[100:101]
	;; [unrolled: 1-line block ×4, first 2 shown]
	v_fma_f64 v[22:23], v[193:194], s[36:37], v[38:39]
	v_fma_f64 v[38:39], v[207:208], s[24:25], -v[44:45]
	v_fma_f64 v[18:19], v[247:248], s[40:41], -v[34:35]
	;; [unrolled: 1-line block ×3, first 2 shown]
	v_mul_f64 v[42:43], v[211:212], s[38:39]
	v_add_f64 v[32:33], v[178:179], v[50:51]
	v_add_f64 v[48:49], v[48:49], v[104:105]
	v_add_f64 v[12:13], v[12:13], v[16:17]
	v_fma_f64 v[16:17], v[233:234], s[18:19], -v[40:41]
	v_add_f64 v[22:23], v[96:97], v[22:23]
	v_mul_f64 v[40:41], v[223:224], s[52:53]
	v_mul_f64 v[100:101], v[219:220], s[20:21]
	v_fma_f64 v[44:45], v[195:196], s[40:41], v[42:43]
	v_fma_f64 v[42:43], v[195:196], s[40:41], -v[42:43]
	v_fma_f64 v[28:29], v[249:250], s[40:41], -v[62:63]
	v_add_f64 v[12:13], v[38:39], v[12:13]
	v_fma_f64 v[38:39], v[205:206], s[24:25], v[46:47]
	v_add_f64 v[46:47], v[98:99], v[102:103]
	v_add_f64 v[22:23], v[36:37], v[22:23]
	v_mul_f64 v[36:37], v[217:218], s[16:17]
	v_fma_f64 v[50:51], v[201:202], s[36:37], v[40:41]
	v_mul_f64 v[102:103], v[203:204], s[52:53]
	v_fma_f64 v[40:41], v[201:202], s[36:37], -v[40:41]
	v_add_f64 v[12:13], v[30:31], v[12:13]
	v_add_f64 v[42:43], v[98:99], v[42:43]
	;; [unrolled: 1-line block ×3, first 2 shown]
	v_fma_f64 v[30:31], v[213:214], s[22:23], v[52:53]
	v_add_f64 v[46:47], v[46:47], v[106:107]
	v_add_f64 v[22:23], v[38:39], v[22:23]
	v_mul_f64 v[38:39], v[227:228], s[20:21]
	v_fma_f64 v[52:53], v[207:208], s[8:9], v[36:37]
	v_add_f64 v[12:13], v[20:21], v[12:13]
	v_fma_f64 v[20:21], v[221:222], s[28:29], v[56:57]
	v_mul_f64 v[56:57], v[197:198], s[38:39]
	v_mul_f64 v[106:107], v[209:210], s[16:17]
	v_fma_f64 v[98:99], v[199:200], s[36:37], v[102:103]
	v_fma_f64 v[102:103], v[199:200], s[36:37], -v[102:103]
	v_fma_f64 v[36:37], v[207:208], s[8:9], -v[36:37]
	v_add_f64 v[40:41], v[40:41], v[42:43]
	v_add_f64 v[12:13], v[16:17], v[12:13]
	v_add_f64 v[44:45], v[50:51], v[44:45]
	v_fma_f64 v[104:105], v[193:194], s[40:41], v[56:57]
	v_fma_f64 v[56:57], v[193:194], s[40:41], -v[56:57]
	v_add_f64 v[22:23], v[30:31], v[22:23]
	v_mul_f64 v[30:31], v[235:236], s[26:27]
	v_fma_f64 v[50:51], v[215:216], s[10:11], v[38:39]
	v_fma_f64 v[42:43], v[205:206], s[8:9], v[106:107]
	v_add_f64 v[12:13], v[34:35], v[12:13]
	v_fma_f64 v[38:39], v[215:216], s[10:11], -v[38:39]
	v_add_f64 v[104:105], v[96:97], v[104:105]
	v_add_f64 v[56:57], v[96:97], v[56:57]
	v_add_f64 v[36:37], v[36:37], v[40:41]
	v_add_f64 v[44:45], v[52:53], v[44:45]
	v_fma_f64 v[16:17], v[231:232], s[18:19], v[54:55]
	v_add_f64 v[20:21], v[20:21], v[22:23]
	v_mul_f64 v[22:23], v[245:246], s[30:31]
	v_fma_f64 v[52:53], v[225:226], s[18:19], v[30:31]
	v_add_f64 v[96:97], v[98:99], v[104:105]
	v_fma_f64 v[98:99], v[205:206], s[8:9], -v[106:107]
	v_add_f64 v[56:57], v[102:103], v[56:57]
	v_add_f64 v[18:19], v[18:19], v[12:13]
	v_fma_f64 v[12:13], v[249:250], s[40:41], v[62:63]
	v_mul_f64 v[62:63], v[229:230], s[26:27]
	v_fma_f64 v[40:41], v[213:214], s[10:11], v[100:101]
	v_fma_f64 v[30:31], v[225:226], s[18:19], -v[30:31]
	v_add_f64 v[42:43], v[42:43], v[96:97]
	v_fma_f64 v[96:97], v[213:214], s[10:11], -v[100:101]
	v_add_f64 v[56:57], v[98:99], v[56:57]
	v_add_f64 v[36:37], v[38:39], v[36:37]
	;; [unrolled: 1-line block ×5, first 2 shown]
	v_fma_f64 v[34:35], v[237:238], s[8:9], v[58:59]
	v_add_f64 v[16:17], v[16:17], v[20:21]
	v_mul_f64 v[20:21], v[253:254], s[42:43]
	v_fma_f64 v[50:51], v[233:234], s[24:25], v[22:23]
	v_mul_f64 v[58:59], v[241:242], s[30:31]
	v_fma_f64 v[38:39], v[221:222], s[18:19], v[62:63]
	v_add_f64 v[40:41], v[40:41], v[42:43]
	v_fma_f64 v[42:43], v[221:222], s[18:19], -v[62:63]
	v_add_f64 v[56:57], v[96:97], v[56:57]
	v_fma_f64 v[22:23], v[233:234], s[24:25], -v[22:23]
	v_add_f64 v[30:31], v[30:31], v[36:37]
	v_add_f64 v[46:47], v[46:47], v[114:115]
	;; [unrolled: 1-line block ×5, first 2 shown]
	v_mul_f64 v[34:35], v[176:177], s[34:35]
	v_fma_f64 v[52:53], v[239:240], s[28:29], v[20:21]
	v_mul_f64 v[54:55], v[251:252], s[42:43]
	v_fma_f64 v[36:37], v[231:232], s[24:25], v[58:59]
	v_add_f64 v[38:39], v[38:39], v[40:41]
	v_fma_f64 v[40:41], v[231:232], s[24:25], -v[58:59]
	v_add_f64 v[42:43], v[42:43], v[56:57]
	v_fma_f64 v[20:21], v[239:240], s[28:29], -v[20:21]
	v_add_f64 v[22:23], v[22:23], v[30:31]
	v_add_f64 v[46:47], v[46:47], v[118:119]
	v_add_f64 v[48:49], v[48:49], v[116:117]
	v_add_f64 v[44:45], v[50:51], v[44:45]
	v_mul_f64 v[50:51], v[174:175], s[34:35]
	buffer_load_dword v56, off, s[64:67], 0 offset:508 ; 4-byte Folded Reload
	buffer_load_dword v57, off, s[64:67], 0 offset:512 ; 4-byte Folded Reload
	;; [unrolled: 1-line block ×4, first 2 shown]
	v_fma_f64 v[30:31], v[237:238], s[28:29], v[54:55]
	v_add_f64 v[36:37], v[36:37], v[38:39]
	v_fma_f64 v[38:39], v[237:238], s[28:29], -v[54:55]
	v_add_f64 v[40:41], v[40:41], v[42:43]
	v_fma_f64 v[42:43], v[247:248], s[22:23], -v[34:35]
	v_add_f64 v[20:21], v[20:21], v[22:23]
	buffer_load_dword v96, off, s[64:67], 0 offset:540 ; 4-byte Folded Reload
	buffer_load_dword v97, off, s[64:67], 0 offset:544 ; 4-byte Folded Reload
	;; [unrolled: 1-line block ×4, first 2 shown]
	v_add_f64 v[46:47], v[46:47], v[122:123]
	v_add_f64 v[48:49], v[48:49], v[120:121]
	v_fma_f64 v[54:55], v[249:250], s[22:23], v[50:51]
	v_add_f64 v[30:31], v[30:31], v[36:37]
	v_add_f64 v[36:37], v[52:53], v[44:45]
	v_fma_f64 v[44:45], v[249:250], s[22:23], -v[50:51]
	buffer_load_dword v50, off, s[64:67], 0 offset:492 ; 4-byte Folded Reload
	buffer_load_dword v51, off, s[64:67], 0 offset:496 ; 4-byte Folded Reload
	buffer_load_dword v52, off, s[64:67], 0 offset:500 ; 4-byte Folded Reload
	buffer_load_dword v53, off, s[64:67], 0 offset:504 ; 4-byte Folded Reload
	v_add_f64 v[38:39], v[38:39], v[40:41]
	v_add_f64 v[22:23], v[42:43], v[20:21]
	buffer_load_dword v40, off, s[64:67], 0 offset:524 ; 4-byte Folded Reload
	buffer_load_dword v41, off, s[64:67], 0 offset:528 ; 4-byte Folded Reload
	;; [unrolled: 1-line block ×4, first 2 shown]
	v_add_f64 v[46:47], v[46:47], v[130:131]
	v_add_f64 v[48:49], v[48:49], v[128:129]
	;; [unrolled: 1-line block ×5, first 2 shown]
	v_fma_f64 v[34:35], v[247:248], s[22:23], v[34:35]
	v_add_f64 v[100:101], v[44:45], v[38:39]
	v_add_f64 v[46:47], v[46:47], v[134:135]
	;; [unrolled: 1-line block ×16, first 2 shown]
	s_waitcnt vmcnt(8)
	v_add_f64 v[46:47], v[46:47], v[98:99]
	v_add_f64 v[48:49], v[48:49], v[96:97]
	s_waitcnt vmcnt(0)
	v_add_f64 v[98:99], v[46:47], v[42:43]
	v_add_f64 v[96:97], v[48:49], v[40:41]
	buffer_load_dword v46, off, s[64:67], 0 offset:476 ; 4-byte Folded Reload
	buffer_load_dword v47, off, s[64:67], 0 offset:480 ; 4-byte Folded Reload
	;; [unrolled: 1-line block ×4, first 2 shown]
	buffer_load_dword v28, off, s[64:67], 0 ; 4-byte Folded Reload
	buffer_load_dword v29, off, s[64:67], 0 offset:8 ; 4-byte Folded Reload
	s_waitcnt vmcnt(1)
	v_mul_lo_u16_e32 v28, 17, v28
	s_waitcnt vmcnt(0)
	v_lshl_add_u32 v28, v28, 4, v29
	ds_write_b128 v28, v[96:99]
	ds_write_b128 v28, v[20:23] offset:16
	ds_write_b128 v28, v[16:19] offset:32
	;; [unrolled: 1-line block ×7, first 2 shown]
	buffer_load_dword v0, off, s[64:67], 0 offset:572 ; 4-byte Folded Reload
	buffer_load_dword v1, off, s[64:67], 0 offset:576 ; 4-byte Folded Reload
	buffer_load_dword v2, off, s[64:67], 0 offset:580 ; 4-byte Folded Reload
	buffer_load_dword v3, off, s[64:67], 0 offset:584 ; 4-byte Folded Reload
	s_waitcnt vmcnt(0)
	ds_write_b128 v28, v[0:3] offset:128
	buffer_load_dword v0, off, s[64:67], 0 offset:556 ; 4-byte Folded Reload
	buffer_load_dword v1, off, s[64:67], 0 offset:560 ; 4-byte Folded Reload
	buffer_load_dword v2, off, s[64:67], 0 offset:564 ; 4-byte Folded Reload
	buffer_load_dword v3, off, s[64:67], 0 offset:568 ; 4-byte Folded Reload
	s_waitcnt vmcnt(0)
	ds_write_b128 v28, v[0:3] offset:144
	;; [unrolled: 6-line block ×3, first 2 shown]
	ds_write_b128 v28, v[168:171] offset:176
	ds_write_b128 v28, v[160:163] offset:192
	;; [unrolled: 1-line block ×6, first 2 shown]
.LBB0_17:
	s_or_b64 exec, exec, s[46:47]
	s_waitcnt lgkmcnt(0)
	s_barrier
	ds_read_b128 v[0:3], v255 offset:1360
	buffer_load_dword v20, off, s[64:67], 0 offset:116 ; 4-byte Folded Reload
	buffer_load_dword v21, off, s[64:67], 0 offset:120 ; 4-byte Folded Reload
	;; [unrolled: 1-line block ×4, first 2 shown]
	ds_read_b128 v[4:7], v255 offset:2720
	ds_read_b128 v[8:11], v255 offset:4080
	buffer_load_dword v26, off, s[64:67], 0 offset:84 ; 4-byte Folded Reload
	buffer_load_dword v27, off, s[64:67], 0 offset:88 ; 4-byte Folded Reload
	;; [unrolled: 1-line block ×4, first 2 shown]
	s_mov_b32 s18, 0xf8bb580b
	s_mov_b32 s19, 0xbfe14ced
	;; [unrolled: 1-line block ×30, first 2 shown]
	s_waitcnt vmcnt(4) lgkmcnt(2)
	v_mul_f64 v[12:13], v[22:23], v[2:3]
	v_mul_f64 v[14:15], v[22:23], v[0:1]
	s_waitcnt lgkmcnt(0)
	v_mul_f64 v[22:23], v[52:53], v[8:9]
	s_waitcnt vmcnt(0)
	v_mul_f64 v[16:17], v[28:29], v[6:7]
	v_mul_f64 v[18:19], v[28:29], v[4:5]
	v_fma_f64 v[28:29], v[20:21], v[0:1], v[12:13]
	v_fma_f64 v[30:31], v[20:21], v[2:3], -v[14:15]
	ds_read_b128 v[0:3], v255
	v_mul_f64 v[20:21], v[52:53], v[10:11]
	v_fma_f64 v[32:33], v[26:27], v[4:5], v[16:17]
	v_fma_f64 v[34:35], v[26:27], v[6:7], -v[18:19]
	ds_read_b128 v[4:7], v255 offset:5440
	ds_read_b128 v[12:15], v255 offset:6800
	s_waitcnt lgkmcnt(2)
	v_add_f64 v[16:17], v[0:1], v[28:29]
	v_add_f64 v[18:19], v[2:3], v[30:31]
	v_fma_f64 v[38:39], v[50:51], v[10:11], -v[22:23]
	s_waitcnt lgkmcnt(1)
	v_mul_f64 v[24:25], v[48:49], v[6:7]
	v_mul_f64 v[26:27], v[48:49], v[4:5]
	v_fma_f64 v[36:37], v[50:51], v[8:9], v[20:21]
	v_add_f64 v[20:21], v[16:17], v[32:33]
	v_add_f64 v[22:23], v[18:19], v[34:35]
	ds_read_b128 v[8:11], v255 offset:8160
	ds_read_b128 v[16:19], v255 offset:9520
	buffer_load_dword v96, off, s[64:67], 0 offset:100 ; 4-byte Folded Reload
	buffer_load_dword v97, off, s[64:67], 0 offset:104 ; 4-byte Folded Reload
	;; [unrolled: 1-line block ×4, first 2 shown]
	v_fma_f64 v[44:45], v[46:47], v[4:5], v[24:25]
	v_fma_f64 v[46:47], v[46:47], v[6:7], -v[26:27]
	s_waitcnt lgkmcnt(1)
	v_mul_f64 v[52:53], v[58:59], v[10:11]
	v_mul_f64 v[54:55], v[58:59], v[8:9]
	v_add_f64 v[48:49], v[20:21], v[36:37]
	v_add_f64 v[50:51], v[22:23], v[38:39]
	ds_read_b128 v[4:7], v255 offset:10880
	ds_read_b128 v[20:23], v255 offset:12240
	;; [unrolled: 1-line block ×3, first 2 shown]
	buffer_load_dword v100, off, s[64:67], 0 offset:36 ; 4-byte Folded Reload
	buffer_load_dword v101, off, s[64:67], 0 offset:40 ; 4-byte Folded Reload
	;; [unrolled: 1-line block ×4, first 2 shown]
	v_fma_f64 v[8:9], v[56:57], v[8:9], v[52:53]
	v_fma_f64 v[10:11], v[56:57], v[10:11], -v[54:55]
	s_waitcnt vmcnt(4)
	v_mul_f64 v[40:41], v[98:99], v[14:15]
	v_mul_f64 v[42:43], v[98:99], v[12:13]
	v_fma_f64 v[12:13], v[96:97], v[12:13], v[40:41]
	v_fma_f64 v[14:15], v[96:97], v[14:15], -v[42:43]
	v_add_f64 v[40:41], v[48:49], v[44:45]
	v_add_f64 v[42:43], v[50:51], v[46:47]
	s_waitcnt vmcnt(0) lgkmcnt(3)
	v_mul_f64 v[48:49], v[102:103], v[18:19]
	v_mul_f64 v[50:51], v[102:103], v[16:17]
	buffer_load_dword v102, off, s[64:67], 0 offset:68 ; 4-byte Folded Reload
	buffer_load_dword v103, off, s[64:67], 0 offset:72 ; 4-byte Folded Reload
	buffer_load_dword v104, off, s[64:67], 0 offset:76 ; 4-byte Folded Reload
	buffer_load_dword v105, off, s[64:67], 0 offset:80 ; 4-byte Folded Reload
	buffer_load_dword v96, off, s[64:67], 0 offset:20 ; 4-byte Folded Reload
	buffer_load_dword v97, off, s[64:67], 0 offset:24 ; 4-byte Folded Reload
	buffer_load_dword v98, off, s[64:67], 0 offset:28 ; 4-byte Folded Reload
	buffer_load_dword v99, off, s[64:67], 0 offset:32 ; 4-byte Folded Reload
	v_add_f64 v[40:41], v[40:41], v[12:13]
	v_add_f64 v[42:43], v[42:43], v[14:15]
	v_fma_f64 v[16:17], v[100:101], v[16:17], v[48:49]
	v_fma_f64 v[18:19], v[100:101], v[18:19], -v[50:51]
	v_add_f64 v[40:41], v[40:41], v[8:9]
	v_add_f64 v[42:43], v[42:43], v[10:11]
	s_waitcnt vmcnt(4) lgkmcnt(0)
	v_mul_f64 v[52:53], v[104:105], v[24:25]
	s_waitcnt vmcnt(0)
	v_mul_f64 v[54:55], v[98:99], v[6:7]
	v_mul_f64 v[56:57], v[98:99], v[4:5]
	buffer_load_dword v98, off, s[64:67], 0 offset:52 ; 4-byte Folded Reload
	buffer_load_dword v99, off, s[64:67], 0 offset:56 ; 4-byte Folded Reload
	;; [unrolled: 1-line block ×4, first 2 shown]
	v_mul_f64 v[48:49], v[104:105], v[26:27]
	s_waitcnt vmcnt(0)
	s_barrier
	v_fma_f64 v[26:27], v[102:103], v[26:27], -v[52:53]
	v_fma_f64 v[54:55], v[96:97], v[4:5], v[54:55]
	v_fma_f64 v[56:57], v[96:97], v[6:7], -v[56:57]
	v_add_f64 v[4:5], v[40:41], v[16:17]
	v_add_f64 v[6:7], v[42:43], v[18:19]
	v_fma_f64 v[24:25], v[102:103], v[24:25], v[48:49]
	v_add_f64 v[40:41], v[30:31], -v[26:27]
	v_add_f64 v[30:31], v[30:31], v[26:27]
	v_add_f64 v[4:5], v[4:5], v[54:55]
	;; [unrolled: 1-line block ×4, first 2 shown]
	v_add_f64 v[28:29], v[28:29], -v[24:25]
	v_mul_f64 v[48:49], v[40:41], s[18:19]
	v_mul_f64 v[58:59], v[40:41], s[8:9]
	;; [unrolled: 1-line block ×6, first 2 shown]
	v_fma_f64 v[108:109], v[28:29], s[28:29], v[102:103]
	v_fma_f64 v[102:103], v[28:29], s[22:23], v[102:103]
	;; [unrolled: 1-line block ×5, first 2 shown]
	v_fma_f64 v[104:105], v[42:43], s[34:35], -v[104:105]
	v_add_f64 v[108:109], v[2:3], v[108:109]
	v_add_f64 v[102:103], v[2:3], v[102:103]
	;; [unrolled: 1-line block ×6, first 2 shown]
	v_mul_f64 v[50:51], v[100:101], v[22:23]
	v_mul_f64 v[52:53], v[100:101], v[20:21]
	v_fma_f64 v[20:21], v[98:99], v[20:21], v[50:51]
	v_fma_f64 v[22:23], v[98:99], v[22:23], -v[52:53]
	v_mul_f64 v[50:51], v[30:31], s[10:11]
	v_fma_f64 v[52:53], v[42:43], s[10:11], v[48:49]
	v_mul_f64 v[98:99], v[40:41], s[22:23]
	v_mul_f64 v[40:41], v[40:41], s[38:39]
	;; [unrolled: 1-line block ×3, first 2 shown]
	v_add_f64 v[4:5], v[4:5], v[20:21]
	v_add_f64 v[6:7], v[6:7], v[22:23]
	v_add_f64 v[114:115], v[34:35], -v[22:23]
	v_add_f64 v[22:23], v[34:35], v[22:23]
	v_fma_f64 v[96:97], v[28:29], s[24:25], v[50:51]
	v_fma_f64 v[34:35], v[42:43], s[40:41], v[40:41]
	;; [unrolled: 1-line block ×3, first 2 shown]
	v_add_f64 v[118:119], v[32:33], v[20:21]
	v_add_f64 v[4:5], v[4:5], v[24:25]
	;; [unrolled: 1-line block ×3, first 2 shown]
	v_fma_f64 v[24:25], v[42:43], s[10:11], -v[48:49]
	v_add_f64 v[26:27], v[0:1], v[52:53]
	v_fma_f64 v[48:49], v[28:29], s[18:19], v[50:51]
	v_fma_f64 v[52:53], v[28:29], s[20:21], v[62:63]
	;; [unrolled: 1-line block ×3, first 2 shown]
	v_add_f64 v[20:21], v[32:33], -v[20:21]
	v_mul_f64 v[32:33], v[114:115], s[8:9]
	v_mul_f64 v[120:121], v[22:23], s[16:17]
	v_fma_f64 v[28:29], v[28:29], s[38:39], v[30:31]
	v_fma_f64 v[50:51], v[42:43], s[16:17], v[58:59]
	v_add_f64 v[96:97], v[2:3], v[96:97]
	v_add_f64 v[24:25], v[0:1], v[24:25]
	;; [unrolled: 1-line block ×4, first 2 shown]
	v_fma_f64 v[58:59], v[42:43], s[16:17], -v[58:59]
	v_fma_f64 v[100:101], v[42:43], s[26:27], v[98:99]
	v_fma_f64 v[98:99], v[42:43], s[26:27], -v[98:99]
	v_add_f64 v[62:63], v[2:3], v[62:63]
	v_fma_f64 v[40:41], v[42:43], s[40:41], -v[40:41]
	v_add_f64 v[30:31], v[0:1], v[34:35]
	v_add_f64 v[34:35], v[2:3], v[116:117]
	v_mul_f64 v[42:43], v[114:115], s[30:31]
	v_mul_f64 v[116:117], v[22:23], s[34:35]
	v_fma_f64 v[122:123], v[118:119], s[16:17], v[32:33]
	v_fma_f64 v[124:125], v[20:21], s[20:21], v[120:121]
	v_add_f64 v[2:3], v[2:3], v[28:29]
	v_fma_f64 v[28:29], v[118:119], s[16:17], -v[32:33]
	v_fma_f64 v[32:33], v[20:21], s[8:9], v[120:121]
	v_add_f64 v[50:51], v[0:1], v[50:51]
	v_add_f64 v[58:59], v[0:1], v[58:59]
	;; [unrolled: 1-line block ×5, first 2 shown]
	v_fma_f64 v[40:41], v[118:119], s[34:35], v[42:43]
	v_fma_f64 v[120:121], v[20:21], s[36:37], v[116:117]
	v_add_f64 v[26:27], v[122:123], v[26:27]
	v_add_f64 v[96:97], v[124:125], v[96:97]
	v_mul_f64 v[122:123], v[114:115], s[42:43]
	v_mul_f64 v[124:125], v[22:23], s[40:41]
	v_add_f64 v[24:25], v[28:29], v[24:25]
	v_add_f64 v[28:29], v[32:33], v[48:49]
	v_fma_f64 v[42:43], v[118:119], s[34:35], -v[42:43]
	v_fma_f64 v[48:49], v[20:21], s[30:31], v[116:117]
	v_mul_f64 v[116:117], v[114:115], s[28:29]
	v_add_f64 v[32:33], v[40:41], v[50:51]
	v_add_f64 v[40:41], v[120:121], v[52:53]
	v_fma_f64 v[50:51], v[118:119], s[40:41], v[122:123]
	v_fma_f64 v[52:53], v[20:21], s[38:39], v[124:125]
	v_mul_f64 v[120:121], v[22:23], s[26:27]
	v_fma_f64 v[124:125], v[20:21], s[42:43], v[124:125]
	v_add_f64 v[42:43], v[42:43], v[58:59]
	v_fma_f64 v[58:59], v[118:119], s[26:27], v[116:117]
	v_mul_f64 v[114:115], v[114:115], s[24:25]
	v_mul_f64 v[22:23], v[22:23], s[10:11]
	v_add_f64 v[50:51], v[50:51], v[100:101]
	v_add_f64 v[52:53], v[52:53], v[108:109]
	v_fma_f64 v[108:109], v[20:21], s[28:29], v[120:121]
	v_add_f64 v[100:101], v[124:125], v[102:103]
	v_fma_f64 v[102:103], v[118:119], s[26:27], -v[116:117]
	v_add_f64 v[58:59], v[58:59], v[110:111]
	v_add_f64 v[110:111], v[38:39], -v[56:57]
	v_add_f64 v[48:49], v[48:49], v[62:63]
	v_fma_f64 v[62:63], v[20:21], s[22:23], v[120:121]
	v_add_f64 v[38:39], v[38:39], v[56:57]
	v_fma_f64 v[122:123], v[118:119], s[40:41], -v[122:123]
	v_add_f64 v[56:57], v[102:103], v[104:105]
	v_add_f64 v[102:103], v[108:109], v[106:107]
	v_fma_f64 v[104:105], v[118:119], s[10:11], v[114:115]
	v_fma_f64 v[106:107], v[20:21], s[18:19], v[22:23]
	v_add_f64 v[108:109], v[36:37], v[54:55]
	v_add_f64 v[36:37], v[36:37], -v[54:55]
	v_mul_f64 v[54:55], v[110:111], s[22:23]
	v_add_f64 v[62:63], v[62:63], v[112:113]
	v_mul_f64 v[112:113], v[38:39], s[26:27]
	v_fma_f64 v[20:21], v[20:21], s[24:25], v[22:23]
	v_add_f64 v[22:23], v[104:105], v[30:31]
	v_add_f64 v[30:31], v[106:107], v[34:35]
	v_mul_f64 v[34:35], v[110:111], s[42:43]
	v_fma_f64 v[114:115], v[118:119], s[10:11], -v[114:115]
	v_fma_f64 v[106:107], v[108:109], s[26:27], v[54:55]
	v_mul_f64 v[104:105], v[38:39], s[40:41]
	v_fma_f64 v[116:117], v[36:37], s[28:29], v[112:113]
	v_add_f64 v[2:3], v[20:21], v[2:3]
	v_fma_f64 v[20:21], v[108:109], s[26:27], -v[54:55]
	v_fma_f64 v[54:55], v[36:37], s[22:23], v[112:113]
	v_fma_f64 v[112:113], v[108:109], s[40:41], v[34:35]
	v_add_f64 v[0:1], v[114:115], v[0:1]
	v_add_f64 v[26:27], v[106:107], v[26:27]
	v_mul_f64 v[106:107], v[110:111], s[20:21]
	v_fma_f64 v[114:115], v[36:37], s[38:39], v[104:105]
	v_add_f64 v[96:97], v[116:117], v[96:97]
	v_mul_f64 v[116:117], v[38:39], s[16:17]
	v_add_f64 v[20:21], v[20:21], v[24:25]
	v_add_f64 v[24:25], v[54:55], v[28:29]
	;; [unrolled: 1-line block ×3, first 2 shown]
	v_fma_f64 v[34:35], v[108:109], s[40:41], -v[34:35]
	v_fma_f64 v[54:55], v[108:109], s[16:17], v[106:107]
	v_mul_f64 v[112:113], v[110:111], s[18:19]
	v_add_f64 v[98:99], v[122:123], v[98:99]
	v_add_f64 v[32:33], v[114:115], v[40:41]
	v_fma_f64 v[40:41], v[36:37], s[42:43], v[104:105]
	v_fma_f64 v[104:105], v[36:37], s[8:9], v[116:117]
	v_fma_f64 v[106:107], v[108:109], s[16:17], -v[106:107]
	v_fma_f64 v[116:117], v[36:37], s[20:21], v[116:117]
	v_add_f64 v[34:35], v[34:35], v[42:43]
	v_add_f64 v[42:43], v[54:55], v[50:51]
	v_fma_f64 v[50:51], v[108:109], s[10:11], v[112:113]
	v_mul_f64 v[114:115], v[38:39], s[10:11]
	v_add_f64 v[40:41], v[40:41], v[48:49]
	v_add_f64 v[48:49], v[104:105], v[52:53]
	;; [unrolled: 1-line block ×4, first 2 shown]
	v_mul_f64 v[100:101], v[110:111], s[30:31]
	v_fma_f64 v[104:105], v[108:109], s[10:11], -v[112:113]
	v_add_f64 v[50:51], v[50:51], v[58:59]
	v_add_f64 v[58:59], v[46:47], -v[18:19]
	v_fma_f64 v[52:53], v[36:37], s[24:25], v[114:115]
	v_mul_f64 v[38:39], v[38:39], s[34:35]
	v_fma_f64 v[106:107], v[36:37], s[18:19], v[114:115]
	v_add_f64 v[18:19], v[46:47], v[18:19]
	v_fma_f64 v[46:47], v[108:109], s[34:35], v[100:101]
	v_add_f64 v[56:57], v[104:105], v[56:57]
	v_add_f64 v[104:105], v[44:45], v[16:17]
	v_add_f64 v[16:17], v[44:45], -v[16:17]
	v_mul_f64 v[44:45], v[58:59], s[30:31]
	v_add_f64 v[52:53], v[52:53], v[62:63]
	v_fma_f64 v[62:63], v[36:37], s[36:37], v[38:39]
	v_add_f64 v[102:103], v[106:107], v[102:103]
	v_mul_f64 v[106:107], v[18:19], s[34:35]
	v_add_f64 v[22:23], v[46:47], v[22:23]
	v_fma_f64 v[46:47], v[108:109], s[34:35], -v[100:101]
	v_fma_f64 v[36:37], v[36:37], s[30:31], v[38:39]
	v_fma_f64 v[100:101], v[104:105], s[34:35], v[44:45]
	v_fma_f64 v[44:45], v[104:105], s[34:35], -v[44:45]
	v_add_f64 v[30:31], v[62:63], v[30:31]
	v_mul_f64 v[38:39], v[58:59], s[28:29]
	v_mul_f64 v[62:63], v[18:19], s[26:27]
	v_fma_f64 v[108:109], v[16:17], s[36:37], v[106:107]
	v_fma_f64 v[106:107], v[16:17], s[30:31], v[106:107]
	v_add_f64 v[0:1], v[46:47], v[0:1]
	v_add_f64 v[2:3], v[36:37], v[2:3]
	;; [unrolled: 1-line block ×3, first 2 shown]
	v_mul_f64 v[44:45], v[58:59], s[18:19]
	v_fma_f64 v[36:37], v[104:105], s[26:27], v[38:39]
	v_fma_f64 v[46:47], v[16:17], s[22:23], v[62:63]
	v_fma_f64 v[38:39], v[104:105], s[26:27], -v[38:39]
	v_add_f64 v[24:25], v[106:107], v[24:25]
	v_fma_f64 v[62:63], v[16:17], s[28:29], v[62:63]
	v_add_f64 v[26:27], v[100:101], v[26:27]
	v_mul_f64 v[100:101], v[18:19], s[10:11]
	v_fma_f64 v[106:107], v[104:105], s[10:11], v[44:45]
	v_fma_f64 v[44:45], v[104:105], s[10:11], -v[44:45]
	v_add_f64 v[28:29], v[36:37], v[28:29]
	v_add_f64 v[32:33], v[46:47], v[32:33]
	v_mul_f64 v[36:37], v[58:59], s[38:39]
	v_mul_f64 v[46:47], v[18:19], s[40:41]
	v_add_f64 v[34:35], v[38:39], v[34:35]
	v_add_f64 v[38:39], v[62:63], v[40:41]
	;; [unrolled: 1-line block ×4, first 2 shown]
	v_add_f64 v[54:55], v[14:15], -v[10:11]
	v_mul_f64 v[10:11], v[58:59], s[20:21]
	v_add_f64 v[96:97], v[108:109], v[96:97]
	v_fma_f64 v[108:109], v[16:17], s[24:25], v[100:101]
	v_fma_f64 v[100:101], v[16:17], s[18:19], v[100:101]
	v_mul_f64 v[14:15], v[18:19], s[16:17]
	v_fma_f64 v[110:111], v[104:105], s[40:41], v[36:37]
	v_fma_f64 v[112:113], v[16:17], s[42:43], v[46:47]
	v_fma_f64 v[18:19], v[104:105], s[40:41], -v[36:37]
	v_fma_f64 v[36:37], v[16:17], s[38:39], v[46:47]
	v_add_f64 v[46:47], v[12:13], v[8:9]
	v_add_f64 v[58:59], v[12:13], -v[8:9]
	v_mul_f64 v[12:13], v[54:55], s[38:39]
	v_fma_f64 v[8:9], v[104:105], s[16:17], v[10:11]
	v_add_f64 v[40:41], v[106:107], v[42:43]
	v_add_f64 v[42:43], v[108:109], v[48:49]
	;; [unrolled: 1-line block ×3, first 2 shown]
	v_mul_f64 v[98:99], v[62:63], s[40:41]
	v_fma_f64 v[100:101], v[16:17], s[8:9], v[14:15]
	v_add_f64 v[36:37], v[36:37], v[102:103]
	v_fma_f64 v[10:11], v[104:105], s[16:17], -v[10:11]
	v_fma_f64 v[14:15], v[16:17], s[20:21], v[14:15]
	v_fma_f64 v[16:17], v[46:47], s[40:41], v[12:13]
	v_add_f64 v[102:103], v[8:9], v[22:23]
	v_mul_f64 v[22:23], v[54:55], s[24:25]
	v_add_f64 v[56:57], v[18:19], v[56:57]
	v_fma_f64 v[18:19], v[58:59], s[42:43], v[98:99]
	v_add_f64 v[100:101], v[100:101], v[30:31]
	v_mul_f64 v[30:31], v[62:63], s[10:11]
	v_add_f64 v[104:105], v[10:11], v[0:1]
	v_add_f64 v[8:9], v[16:17], v[26:27]
	v_fma_f64 v[0:1], v[46:47], s[40:41], -v[12:13]
	v_fma_f64 v[12:13], v[46:47], s[10:11], v[22:23]
	v_mul_f64 v[26:27], v[54:55], s[30:31]
	v_add_f64 v[106:107], v[14:15], v[2:3]
	v_add_f64 v[10:11], v[18:19], v[96:97]
	v_fma_f64 v[2:3], v[58:59], s[38:39], v[98:99]
	v_fma_f64 v[14:15], v[58:59], s[18:19], v[30:31]
	v_mul_f64 v[96:97], v[62:63], s[34:35]
	v_fma_f64 v[16:17], v[46:47], s[10:11], -v[22:23]
	v_fma_f64 v[18:19], v[58:59], s[24:25], v[30:31]
	v_add_f64 v[0:1], v[0:1], v[20:21]
	v_add_f64 v[12:13], v[12:13], v[28:29]
	v_fma_f64 v[20:21], v[46:47], s[34:35], v[26:27]
	v_mul_f64 v[28:29], v[54:55], s[20:21]
	v_mul_f64 v[30:31], v[62:63], s[16:17]
	v_add_f64 v[2:3], v[2:3], v[24:25]
	v_add_f64 v[14:15], v[14:15], v[32:33]
	v_add_f64 v[16:17], v[16:17], v[34:35]
	v_fma_f64 v[24:25], v[46:47], s[34:35], -v[26:27]
	v_fma_f64 v[26:27], v[58:59], s[30:31], v[96:97]
	v_mul_f64 v[32:33], v[54:55], s[22:23]
	v_mul_f64 v[34:35], v[62:63], s[26:27]
	v_fma_f64 v[22:23], v[58:59], s[36:37], v[96:97]
	v_add_f64 v[50:51], v[110:111], v[50:51]
	v_add_f64 v[52:53], v[112:113], v[52:53]
	;; [unrolled: 1-line block ×4, first 2 shown]
	v_fma_f64 v[38:39], v[46:47], s[16:17], v[28:29]
	v_fma_f64 v[40:41], v[58:59], s[8:9], v[30:31]
	v_add_f64 v[24:25], v[24:25], v[44:45]
	v_add_f64 v[26:27], v[26:27], v[48:49]
	v_fma_f64 v[44:45], v[58:59], s[20:21], v[30:31]
	v_fma_f64 v[48:49], v[46:47], s[26:27], v[32:33]
	;; [unrolled: 1-line block ×3, first 2 shown]
	v_add_f64 v[22:23], v[22:23], v[42:43]
	v_fma_f64 v[42:43], v[46:47], s[16:17], -v[28:29]
	v_fma_f64 v[46:47], v[46:47], s[26:27], -v[32:33]
	v_fma_f64 v[58:59], v[58:59], s[22:23], v[34:35]
	v_add_f64 v[28:29], v[38:39], v[50:51]
	v_add_f64 v[30:31], v[40:41], v[52:53]
	;; [unrolled: 1-line block ×8, first 2 shown]
	ds_write_b128 v192, v[4:7]
	ds_write_b128 v192, v[8:11] offset:272
	ds_write_b128 v192, v[12:15] offset:544
	;; [unrolled: 1-line block ×10, first 2 shown]
	s_waitcnt lgkmcnt(0)
	s_barrier
	ds_read_b128 v[24:27], v255
	ds_read_b128 v[4:7], v255 offset:1360
	ds_read_b128 v[48:51], v255 offset:2992
	;; [unrolled: 1-line block ×9, first 2 shown]
	v_add_u32_e32 v8, 0x550, v61
	s_and_saveexec_b64 s[8:9], s[2:3]
	s_cbranch_execz .LBB0_19
; %bb.18:
	ds_read_b128 v[0:3], v255 offset:2720
	ds_read_b128 v[168:171], v255 offset:5712
	;; [unrolled: 1-line block ×5, first 2 shown]
.LBB0_19:
	s_or_b64 exec, exec, s[8:9]
	s_waitcnt lgkmcnt(7)
	v_mul_f64 v[9:10], v[82:83], v[50:51]
	v_mul_f64 v[11:12], v[82:83], v[48:49]
	s_waitcnt lgkmcnt(5)
	v_mul_f64 v[13:14], v[78:79], v[54:55]
	s_waitcnt lgkmcnt(3)
	v_mul_f64 v[17:18], v[74:75], v[58:59]
	v_mul_f64 v[15:16], v[78:79], v[52:53]
	s_waitcnt lgkmcnt(1)
	v_mul_f64 v[21:22], v[70:71], v[46:47]
	v_mul_f64 v[61:62], v[70:71], v[44:45]
	;; [unrolled: 1-line block ×3, first 2 shown]
	v_fma_f64 v[48:49], v[80:81], v[48:49], v[9:10]
	v_fma_f64 v[50:51], v[80:81], v[50:51], -v[11:12]
	v_fma_f64 v[11:12], v[76:77], v[52:53], v[13:14]
	v_fma_f64 v[52:53], v[72:73], v[56:57], v[17:18]
	v_mul_f64 v[9:10], v[94:95], v[42:43]
	v_fma_f64 v[13:14], v[68:69], v[44:45], v[21:22]
	v_fma_f64 v[44:45], v[68:69], v[46:47], -v[61:62]
	v_mul_f64 v[17:18], v[94:95], v[40:41]
	v_mul_f64 v[21:22], v[90:91], v[38:39]
	v_add_f64 v[46:47], v[24:25], v[48:49]
	v_fma_f64 v[15:16], v[76:77], v[54:55], -v[15:16]
	v_add_f64 v[56:57], v[11:12], v[52:53]
	v_fma_f64 v[19:20], v[72:73], v[58:59], -v[19:20]
	v_mul_f64 v[54:55], v[90:91], v[36:37]
	v_fma_f64 v[40:41], v[92:93], v[40:41], v[9:10]
	v_mul_f64 v[9:10], v[86:87], v[34:35]
	v_mul_f64 v[58:59], v[86:87], v[32:33]
	v_fma_f64 v[42:43], v[92:93], v[42:43], -v[17:18]
	v_fma_f64 v[36:37], v[88:89], v[36:37], v[21:22]
	v_add_f64 v[17:18], v[46:47], v[11:12]
	v_fma_f64 v[21:22], v[56:57], -0.5, v[24:25]
	v_add_f64 v[46:47], v[50:51], -v[44:45]
	v_add_f64 v[68:69], v[48:49], v[13:14]
	s_mov_b32 s8, 0x134454ff
	s_mov_b32 s9, 0xbfee6f0e
	v_fma_f64 v[38:39], v[88:89], v[38:39], -v[54:55]
	v_fma_f64 v[54:55], v[84:85], v[32:33], v[9:10]
	v_fma_f64 v[34:35], v[84:85], v[34:35], -v[58:59]
	s_waitcnt lgkmcnt(0)
	v_mul_f64 v[9:10], v[66:67], v[30:31]
	v_mul_f64 v[32:33], v[66:67], v[28:29]
	v_add_f64 v[17:18], v[17:18], v[52:53]
	v_fma_f64 v[56:57], v[46:47], s[8:9], v[21:22]
	v_add_f64 v[58:59], v[15:16], -v[19:20]
	v_add_f64 v[61:62], v[48:49], -v[11:12]
	;; [unrolled: 1-line block ×3, first 2 shown]
	v_fma_f64 v[23:24], v[68:69], -0.5, v[24:25]
	s_mov_b32 s16, 0x4755a5e
	s_mov_b32 s17, 0xbfe2cf23
	;; [unrolled: 1-line block ×4, first 2 shown]
	v_fma_f64 v[70:71], v[64:65], v[28:29], v[9:10]
	v_fma_f64 v[63:64], v[64:65], v[30:31], -v[32:33]
	v_add_f64 v[9:10], v[17:18], v[13:14]
	v_fma_f64 v[17:18], v[58:59], s[16:17], v[56:57]
	v_add_f64 v[28:29], v[61:62], v[66:67]
	v_fma_f64 v[21:22], v[46:47], s[20:21], v[21:22]
	v_fma_f64 v[56:57], v[58:59], s[20:21], v[23:24]
	v_add_f64 v[61:62], v[11:12], -v[48:49]
	v_add_f64 v[65:66], v[52:53], -v[13:14]
	v_add_f64 v[30:31], v[26:27], v[50:51]
	v_add_f64 v[32:33], v[15:16], v[19:20]
	v_fma_f64 v[23:24], v[58:59], s[8:9], v[23:24]
	s_mov_b32 s19, 0x3fe2cf23
	s_mov_b32 s18, s16
	v_fma_f64 v[21:22], v[58:59], s[18:19], v[21:22]
	v_fma_f64 v[56:57], v[46:47], s[16:17], v[56:57]
	v_add_f64 v[58:59], v[61:62], v[65:66]
	v_add_f64 v[30:31], v[30:31], v[15:16]
	v_fma_f64 v[32:33], v[32:33], -0.5, v[26:27]
	v_add_f64 v[48:49], v[48:49], -v[13:14]
	v_fma_f64 v[23:24], v[46:47], s[18:19], v[23:24]
	v_add_f64 v[46:47], v[50:51], v[44:45]
	s_mov_b32 s10, 0x372fe950
	s_mov_b32 s11, 0x3fd3c6ef
	v_fma_f64 v[13:14], v[28:29], s[10:11], v[17:18]
	v_fma_f64 v[17:18], v[28:29], s[10:11], v[21:22]
	;; [unrolled: 1-line block ×3, first 2 shown]
	v_add_f64 v[56:57], v[36:37], v[54:55]
	v_add_f64 v[30:31], v[30:31], v[19:20]
	v_fma_f64 v[61:62], v[48:49], s[20:21], v[32:33]
	v_add_f64 v[52:53], v[11:12], -v[52:53]
	v_fma_f64 v[28:29], v[58:59], s[10:11], v[23:24]
	v_fma_f64 v[23:24], v[46:47], -0.5, v[26:27]
	v_add_f64 v[65:66], v[50:51], -v[15:16]
	v_add_f64 v[67:68], v[44:45], -v[19:20]
	v_fma_f64 v[46:47], v[56:57], -0.5, v[4:5]
	v_add_f64 v[56:57], v[42:43], -v[63:64]
	v_add_f64 v[11:12], v[30:31], v[44:45]
	v_fma_f64 v[25:26], v[52:53], s[18:19], v[61:62]
	v_add_f64 v[30:31], v[4:5], v[40:41]
	v_fma_f64 v[61:62], v[52:53], s[8:9], v[23:24]
	v_add_f64 v[15:16], v[15:16], -v[50:51]
	v_add_f64 v[19:20], v[19:20], -v[44:45]
	v_fma_f64 v[23:24], v[52:53], s[20:21], v[23:24]
	v_fma_f64 v[32:33], v[48:49], s[8:9], v[32:33]
	v_add_f64 v[58:59], v[65:66], v[67:68]
	v_fma_f64 v[44:45], v[56:57], s[8:9], v[46:47]
	v_add_f64 v[50:51], v[38:39], -v[34:35]
	v_add_f64 v[65:66], v[40:41], -v[36:37]
	;; [unrolled: 1-line block ×3, first 2 shown]
	v_add_f64 v[30:31], v[30:31], v[36:37]
	v_fma_f64 v[61:62], v[48:49], s[18:19], v[61:62]
	v_add_f64 v[72:73], v[15:16], v[19:20]
	v_fma_f64 v[48:49], v[48:49], s[16:17], v[23:24]
	v_fma_f64 v[32:33], v[52:53], s[16:17], v[32:33]
	v_add_f64 v[52:53], v[40:41], v[70:71]
	v_fma_f64 v[44:45], v[50:51], s[16:17], v[44:45]
	v_add_f64 v[65:66], v[65:66], v[67:68]
	v_add_f64 v[74:75], v[30:31], v[54:55]
	v_fma_f64 v[15:16], v[58:59], s[10:11], v[25:26]
	v_add_f64 v[67:68], v[6:7], v[42:43]
	v_fma_f64 v[30:31], v[72:73], s[10:11], v[48:49]
	;; [unrolled: 2-line block ×3, first 2 shown]
	v_add_f64 v[58:59], v[42:43], v[63:64]
	v_fma_f64 v[25:26], v[52:53], -0.5, v[4:5]
	v_fma_f64 v[32:33], v[65:66], s[10:11], v[44:45]
	v_fma_f64 v[44:45], v[56:57], s[20:21], v[46:47]
	;; [unrolled: 1-line block ×3, first 2 shown]
	v_add_f64 v[52:53], v[36:37], -v[40:41]
	v_add_f64 v[61:62], v[54:55], -v[70:71]
	v_fma_f64 v[48:49], v[48:49], -0.5, v[6:7]
	v_add_f64 v[40:41], v[40:41], -v[70:71]
	v_add_f64 v[36:37], v[36:37], -v[54:55]
	v_fma_f64 v[6:7], v[58:59], -0.5, v[6:7]
	v_fma_f64 v[46:47], v[50:51], s[20:21], v[25:26]
	v_fma_f64 v[44:45], v[50:51], s[18:19], v[44:45]
	;; [unrolled: 1-line block ×3, first 2 shown]
	v_add_f64 v[50:51], v[67:68], v[38:39]
	v_add_f64 v[52:53], v[52:53], v[61:62]
	v_fma_f64 v[54:55], v[40:41], s[20:21], v[48:49]
	v_add_f64 v[58:59], v[42:43], -v[38:39]
	v_add_f64 v[61:62], v[63:64], -v[34:35]
	v_fma_f64 v[67:68], v[36:37], s[8:9], v[6:7]
	v_add_f64 v[38:39], v[38:39], -v[42:43]
	v_add_f64 v[42:43], v[34:35], -v[63:64]
	v_fma_f64 v[48:49], v[40:41], s[8:9], v[48:49]
	v_fma_f64 v[6:7], v[36:37], s[20:21], v[6:7]
	v_add_f64 v[34:35], v[50:51], v[34:35]
	v_fma_f64 v[50:51], v[36:37], s[18:19], v[54:55]
	v_add_f64 v[54:55], v[58:59], v[61:62]
	v_fma_f64 v[46:47], v[56:57], s[16:17], v[46:47]
	v_fma_f64 v[25:26], v[56:57], s[18:19], v[25:26]
	v_fma_f64 v[56:57], v[40:41], s[18:19], v[67:68]
	v_add_f64 v[58:59], v[38:39], v[42:43]
	v_fma_f64 v[48:49], v[36:37], s[16:17], v[48:49]
	v_fma_f64 v[61:62], v[40:41], s[16:17], v[6:7]
	v_add_f64 v[4:5], v[74:75], v[70:71]
	v_add_f64 v[6:7], v[34:35], v[63:64]
	v_fma_f64 v[34:35], v[54:55], s[10:11], v[50:51]
	v_fma_f64 v[40:41], v[52:53], s[10:11], v[46:47]
	;; [unrolled: 1-line block ×7, first 2 shown]
	ds_write_b128 v60, v[9:12]
	ds_write_b128 v60, v[13:16] offset:2992
	ds_write_b128 v60, v[21:24] offset:5984
	;; [unrolled: 1-line block ×9, first 2 shown]
	buffer_load_dword v4, off, s[64:67], 0  ; 4-byte Folded Reload
	buffer_load_dword v5, off, s[64:67], 0 offset:4 ; 4-byte Folded Reload
	s_waitcnt vmcnt(1)
	v_lshlrev_b32_e32 v4, 4, v4
	s_waitcnt vmcnt(0)
	v_lshl_add_u32 v4, v5, 4, v4
	s_and_saveexec_b64 s[22:23], s[2:3]
	s_cbranch_execz .LBB0_21
; %bb.20:
	buffer_load_dword v33, off, s[64:67], 0 offset:180 ; 4-byte Folded Reload
	buffer_load_dword v34, off, s[64:67], 0 offset:184 ; 4-byte Folded Reload
	;; [unrolled: 1-line block ×16, first 2 shown]
	s_waitcnt vmcnt(12)
	v_mul_f64 v[5:6], v[35:36], v[160:161]
	s_waitcnt vmcnt(8)
	v_mul_f64 v[7:8], v[23:24], v[168:169]
	;; [unrolled: 2-line block ×4, first 2 shown]
	v_mul_f64 v[13:14], v[35:36], v[162:163]
	v_mul_f64 v[15:16], v[31:32], v[158:159]
	;; [unrolled: 1-line block ×4, first 2 shown]
	v_fma_f64 v[5:6], v[33:34], v[162:163], -v[5:6]
	v_fma_f64 v[7:8], v[21:22], v[170:171], -v[7:8]
	v_fma_f64 v[9:10], v[25:26], v[166:167], -v[9:10]
	v_fma_f64 v[11:12], v[29:30], v[158:159], -v[11:12]
	v_fma_f64 v[13:14], v[33:34], v[160:161], v[13:14]
	v_fma_f64 v[15:16], v[29:30], v[156:157], v[15:16]
	;; [unrolled: 1-line block ×4, first 2 shown]
	v_add_f64 v[23:24], v[5:6], -v[7:8]
	v_add_f64 v[19:20], v[7:8], v[9:10]
	v_add_f64 v[31:32], v[5:6], v[11:12]
	v_add_f64 v[25:26], v[11:12], -v[9:10]
	v_add_f64 v[27:28], v[13:14], -v[15:16]
	;; [unrolled: 1-line block ×5, first 2 shown]
	v_add_f64 v[37:38], v[2:3], v[7:8]
	v_fma_f64 v[19:20], v[19:20], -0.5, v[2:3]
	v_add_f64 v[43:44], v[7:8], -v[9:10]
	v_fma_f64 v[2:3], v[31:32], -0.5, v[2:3]
	v_add_f64 v[7:8], v[17:18], v[21:22]
	v_add_f64 v[47:48], v[13:14], v[15:16]
	;; [unrolled: 1-line block ×4, first 2 shown]
	v_add_f64 v[45:46], v[5:6], -v[11:12]
	v_fma_f64 v[31:32], v[27:28], s[20:21], v[19:20]
	v_fma_f64 v[19:20], v[27:28], s[8:9], v[19:20]
	v_fma_f64 v[25:26], v[29:30], s[8:9], v[2:3]
	v_fma_f64 v[2:3], v[29:30], s[20:21], v[2:3]
	v_add_f64 v[39:40], v[13:14], -v[17:18]
	v_add_f64 v[5:6], v[37:38], v[5:6]
	v_add_f64 v[17:18], v[17:18], -v[13:14]
	v_add_f64 v[13:14], v[49:50], v[13:14]
	v_fma_f64 v[31:32], v[29:30], s[16:17], v[31:32]
	v_fma_f64 v[19:20], v[29:30], s[18:19], v[19:20]
	v_add_f64 v[29:30], v[33:34], v[35:36]
	v_fma_f64 v[33:34], v[7:8], -0.5, v[0:1]
	v_fma_f64 v[0:1], v[47:48], -0.5, v[0:1]
	v_fma_f64 v[25:26], v[27:28], s[16:17], v[25:26]
	v_fma_f64 v[27:28], v[27:28], s[18:19], v[2:3]
	v_add_f64 v[41:42], v[15:16], -v[21:22]
	v_fma_f64 v[2:3], v[23:24], s[10:11], v[31:32]
	v_fma_f64 v[7:8], v[23:24], s[10:11], v[19:20]
	v_add_f64 v[19:20], v[21:22], -v[15:16]
	v_fma_f64 v[31:32], v[45:46], s[20:21], v[33:34]
	v_fma_f64 v[23:24], v[43:44], s[8:9], v[0:1]
	;; [unrolled: 1-line block ×4, first 2 shown]
	v_add_f64 v[5:6], v[5:6], v[11:12]
	v_add_f64 v[13:14], v[13:14], v[15:16]
	;; [unrolled: 1-line block ×4, first 2 shown]
	v_fma_f64 v[31:32], v[43:44], s[16:17], v[31:32]
	v_fma_f64 v[23:24], v[45:46], s[16:17], v[23:24]
	;; [unrolled: 1-line block ×4, first 2 shown]
	v_add_f64 v[19:20], v[5:6], v[9:10]
	v_add_f64 v[17:18], v[13:14], v[21:22]
	v_fma_f64 v[15:16], v[29:30], s[10:11], v[27:28]
	v_fma_f64 v[11:12], v[29:30], s[10:11], v[25:26]
	;; [unrolled: 1-line block ×6, first 2 shown]
	ds_write_b128 v4, v[17:20] offset:2720
	ds_write_b128 v4, v[13:16] offset:5712
	;; [unrolled: 1-line block ×5, first 2 shown]
.LBB0_21:
	s_or_b64 exec, exec, s[22:23]
	s_waitcnt lgkmcnt(0)
	s_barrier
	buffer_load_dword v19, off, s[64:67], 0 offset:12 ; 4-byte Folded Reload
	buffer_load_dword v20, off, s[64:67], 0 offset:16 ; 4-byte Folded Reload
	s_and_b64 s[0:1], exec, s[0:1]
	s_mov_b64 exec, s[0:1]
	s_cbranch_execz .LBB0_23
; %bb.22:
	buffer_load_dword v21, off, s[64:67], 0 ; 4-byte Folded Reload
	ds_read_b128 v[5:8], v60
	s_waitcnt vmcnt(2)
	v_mad_u64_u32 v[13:14], s[0:1], s6, v19, 0
	ds_read_b128 v[9:12], v4 offset:880
	s_mul_i32 s3, s5, 0x370
	s_mul_i32 s2, s4, 0x370
	s_waitcnt vmcnt(0)
	v_lshlrev_b32_e32 v22, 4, v21
	global_load_dwordx4 v[0:3], v22, s[12:13]
	v_mad_u64_u32 v[15:16], s[0:1], s4, v21, 0
	v_mad_u64_u32 v[19:20], s[0:1], s7, v19, v[14:15]
	v_mov_b32_e32 v14, v19
	s_waitcnt vmcnt(0) lgkmcnt(1)
	v_mul_f64 v[17:18], v[7:8], v[2:3]
	v_mul_f64 v[2:3], v[5:6], v[2:3]
	v_fma_f64 v[5:6], v[5:6], v[0:1], v[17:18]
	v_fma_f64 v[2:3], v[0:1], v[7:8], -v[2:3]
	v_mad_u64_u32 v[20:21], s[0:1], s5, v21, v[16:17]
	s_mov_b32 s0, 0xfa401186
	s_mov_b32 s1, 0x3f5185e2
	v_lshlrev_b64 v[7:8], 4, v[13:14]
	v_mov_b32_e32 v16, v20
	v_mul_f64 v[0:1], v[5:6], s[0:1]
	v_mul_f64 v[2:3], v[2:3], s[0:1]
	v_mov_b32_e32 v17, s15
	v_lshlrev_b64 v[13:14], 4, v[15:16]
	v_add_co_u32_e32 v5, vcc, s14, v7
	v_addc_co_u32_e32 v6, vcc, v17, v8, vcc
	v_add_co_u32_e32 v5, vcc, v5, v13
	v_addc_co_u32_e32 v6, vcc, v6, v14, vcc
	global_store_dwordx4 v[5:6], v[0:3], off
	global_load_dwordx4 v[0:3], v22, s[12:13] offset:880
	s_mul_hi_u32 s5, s4, 0x370
	s_add_i32 s3, s5, s3
	v_add_co_u32_e32 v13, vcc, s2, v5
	v_mov_b32_e32 v17, s13
	s_movk_i32 s4, 0x1000
	s_waitcnt vmcnt(0) lgkmcnt(0)
	v_mul_f64 v[7:8], v[11:12], v[2:3]
	v_mul_f64 v[2:3], v[9:10], v[2:3]
	v_fma_f64 v[7:8], v[9:10], v[0:1], v[7:8]
	v_fma_f64 v[2:3], v[0:1], v[11:12], -v[2:3]
	v_mul_f64 v[0:1], v[7:8], s[0:1]
	v_mul_f64 v[2:3], v[2:3], s[0:1]
	v_mov_b32_e32 v7, s3
	v_addc_co_u32_e32 v14, vcc, v6, v7, vcc
	global_store_dwordx4 v[13:14], v[0:3], off
	global_load_dwordx4 v[0:3], v22, s[12:13] offset:1760
	ds_read_b128 v[5:8], v4 offset:1760
	ds_read_b128 v[9:12], v4 offset:2640
	s_waitcnt vmcnt(0) lgkmcnt(1)
	v_mul_f64 v[15:16], v[7:8], v[2:3]
	v_mul_f64 v[2:3], v[5:6], v[2:3]
	v_fma_f64 v[5:6], v[5:6], v[0:1], v[15:16]
	v_fma_f64 v[2:3], v[0:1], v[7:8], -v[2:3]
	v_mul_f64 v[0:1], v[5:6], s[0:1]
	v_mul_f64 v[2:3], v[2:3], s[0:1]
	v_mov_b32_e32 v6, s3
	v_add_co_u32_e32 v5, vcc, s2, v13
	v_addc_co_u32_e32 v6, vcc, v14, v6, vcc
	v_add_co_u32_e32 v13, vcc, s2, v5
	global_store_dwordx4 v[5:6], v[0:3], off
	global_load_dwordx4 v[0:3], v22, s[12:13] offset:2640
	s_waitcnt vmcnt(0) lgkmcnt(0)
	v_mul_f64 v[7:8], v[11:12], v[2:3]
	v_mul_f64 v[2:3], v[9:10], v[2:3]
	v_fma_f64 v[7:8], v[9:10], v[0:1], v[7:8]
	v_fma_f64 v[2:3], v[0:1], v[11:12], -v[2:3]
	v_mul_f64 v[0:1], v[7:8], s[0:1]
	v_mul_f64 v[2:3], v[2:3], s[0:1]
	v_mov_b32_e32 v7, s3
	v_addc_co_u32_e32 v14, vcc, v6, v7, vcc
	v_add_co_u32_e32 v19, vcc, s12, v22
	v_addc_co_u32_e32 v20, vcc, 0, v17, vcc
	global_store_dwordx4 v[13:14], v[0:3], off
	global_load_dwordx4 v[0:3], v22, s[12:13] offset:3520
	ds_read_b128 v[5:8], v4 offset:3520
	ds_read_b128 v[9:12], v4 offset:4400
	s_waitcnt vmcnt(0) lgkmcnt(1)
	v_mul_f64 v[15:16], v[7:8], v[2:3]
	v_mul_f64 v[2:3], v[5:6], v[2:3]
	v_fma_f64 v[5:6], v[5:6], v[0:1], v[15:16]
	v_fma_f64 v[2:3], v[0:1], v[7:8], -v[2:3]
	v_add_co_u32_e32 v15, vcc, s4, v19
	v_addc_co_u32_e32 v16, vcc, 0, v20, vcc
	v_mov_b32_e32 v7, s3
	s_movk_i32 s4, 0x2000
	v_mul_f64 v[0:1], v[5:6], s[0:1]
	v_mul_f64 v[2:3], v[2:3], s[0:1]
	v_add_co_u32_e32 v5, vcc, s2, v13
	v_addc_co_u32_e32 v6, vcc, v14, v7, vcc
	v_add_co_u32_e32 v13, vcc, s2, v5
	global_store_dwordx4 v[5:6], v[0:3], off
	global_load_dwordx4 v[0:3], v[15:16], off offset:304
	s_waitcnt vmcnt(0) lgkmcnt(0)
	v_mul_f64 v[7:8], v[11:12], v[2:3]
	v_mul_f64 v[2:3], v[9:10], v[2:3]
	v_fma_f64 v[7:8], v[9:10], v[0:1], v[7:8]
	v_fma_f64 v[2:3], v[0:1], v[11:12], -v[2:3]
	v_mul_f64 v[0:1], v[7:8], s[0:1]
	v_mul_f64 v[2:3], v[2:3], s[0:1]
	v_mov_b32_e32 v7, s3
	v_addc_co_u32_e32 v14, vcc, v6, v7, vcc
	global_store_dwordx4 v[13:14], v[0:3], off
	global_load_dwordx4 v[0:3], v[15:16], off offset:1184
	ds_read_b128 v[5:8], v4 offset:5280
	ds_read_b128 v[9:12], v4 offset:6160
	s_waitcnt vmcnt(0) lgkmcnt(1)
	v_mul_f64 v[17:18], v[7:8], v[2:3]
	v_mul_f64 v[2:3], v[5:6], v[2:3]
	v_fma_f64 v[5:6], v[5:6], v[0:1], v[17:18]
	v_fma_f64 v[2:3], v[0:1], v[7:8], -v[2:3]
	v_mul_f64 v[0:1], v[5:6], s[0:1]
	v_mul_f64 v[2:3], v[2:3], s[0:1]
	v_mov_b32_e32 v6, s3
	v_add_co_u32_e32 v5, vcc, s2, v13
	v_addc_co_u32_e32 v6, vcc, v14, v6, vcc
	v_add_co_u32_e32 v13, vcc, s2, v5
	global_store_dwordx4 v[5:6], v[0:3], off
	global_load_dwordx4 v[0:3], v[15:16], off offset:2064
	s_waitcnt vmcnt(0) lgkmcnt(0)
	v_mul_f64 v[7:8], v[11:12], v[2:3]
	v_mul_f64 v[2:3], v[9:10], v[2:3]
	v_fma_f64 v[7:8], v[9:10], v[0:1], v[7:8]
	v_fma_f64 v[2:3], v[0:1], v[11:12], -v[2:3]
	v_mul_f64 v[0:1], v[7:8], s[0:1]
	v_mul_f64 v[2:3], v[2:3], s[0:1]
	v_mov_b32_e32 v7, s3
	v_addc_co_u32_e32 v14, vcc, v6, v7, vcc
	global_store_dwordx4 v[13:14], v[0:3], off
	global_load_dwordx4 v[0:3], v[15:16], off offset:2944
	ds_read_b128 v[5:8], v4 offset:7040
	ds_read_b128 v[9:12], v4 offset:7920
	s_waitcnt vmcnt(0) lgkmcnt(1)
	v_mul_f64 v[17:18], v[7:8], v[2:3]
	v_mul_f64 v[2:3], v[5:6], v[2:3]
	v_fma_f64 v[5:6], v[5:6], v[0:1], v[17:18]
	v_fma_f64 v[2:3], v[0:1], v[7:8], -v[2:3]
	v_mul_f64 v[0:1], v[5:6], s[0:1]
	v_mul_f64 v[2:3], v[2:3], s[0:1]
	v_mov_b32_e32 v6, s3
	v_add_co_u32_e32 v5, vcc, s2, v13
	v_addc_co_u32_e32 v6, vcc, v14, v6, vcc
	v_add_co_u32_e32 v13, vcc, s4, v19
	global_store_dwordx4 v[5:6], v[0:3], off
	global_load_dwordx4 v[0:3], v[15:16], off offset:3824
	v_addc_co_u32_e32 v14, vcc, 0, v20, vcc
	v_add_co_u32_e32 v15, vcc, s2, v5
	s_movk_i32 s4, 0x3000
	s_waitcnt vmcnt(0) lgkmcnt(0)
	v_mul_f64 v[7:8], v[11:12], v[2:3]
	v_mul_f64 v[2:3], v[9:10], v[2:3]
	v_fma_f64 v[7:8], v[9:10], v[0:1], v[7:8]
	v_fma_f64 v[2:3], v[0:1], v[11:12], -v[2:3]
	v_mov_b32_e32 v9, s3
	v_addc_co_u32_e32 v16, vcc, v6, v9, vcc
	v_mul_f64 v[0:1], v[7:8], s[0:1]
	v_mul_f64 v[2:3], v[2:3], s[0:1]
	global_store_dwordx4 v[15:16], v[0:3], off
	global_load_dwordx4 v[0:3], v[13:14], off offset:608
	ds_read_b128 v[5:8], v4 offset:8800
	ds_read_b128 v[9:12], v4 offset:9680
	s_waitcnt vmcnt(0) lgkmcnt(1)
	v_mul_f64 v[17:18], v[7:8], v[2:3]
	v_mul_f64 v[2:3], v[5:6], v[2:3]
	v_fma_f64 v[5:6], v[5:6], v[0:1], v[17:18]
	v_fma_f64 v[2:3], v[0:1], v[7:8], -v[2:3]
	v_mul_f64 v[0:1], v[5:6], s[0:1]
	v_mul_f64 v[2:3], v[2:3], s[0:1]
	v_mov_b32_e32 v6, s3
	v_add_co_u32_e32 v5, vcc, s2, v15
	v_addc_co_u32_e32 v6, vcc, v16, v6, vcc
	v_add_co_u32_e32 v15, vcc, s2, v5
	global_store_dwordx4 v[5:6], v[0:3], off
	global_load_dwordx4 v[0:3], v[13:14], off offset:1488
	s_waitcnt vmcnt(0) lgkmcnt(0)
	v_mul_f64 v[7:8], v[11:12], v[2:3]
	v_mul_f64 v[2:3], v[9:10], v[2:3]
	v_fma_f64 v[7:8], v[9:10], v[0:1], v[7:8]
	v_fma_f64 v[2:3], v[0:1], v[11:12], -v[2:3]
	v_mul_f64 v[0:1], v[7:8], s[0:1]
	v_mul_f64 v[2:3], v[2:3], s[0:1]
	v_mov_b32_e32 v7, s3
	v_addc_co_u32_e32 v16, vcc, v6, v7, vcc
	global_store_dwordx4 v[15:16], v[0:3], off
	global_load_dwordx4 v[0:3], v[13:14], off offset:2368
	ds_read_b128 v[5:8], v4 offset:10560
	ds_read_b128 v[9:12], v4 offset:11440
	s_waitcnt vmcnt(0) lgkmcnt(1)
	v_mul_f64 v[17:18], v[7:8], v[2:3]
	v_mul_f64 v[2:3], v[5:6], v[2:3]
	v_fma_f64 v[5:6], v[5:6], v[0:1], v[17:18]
	v_fma_f64 v[2:3], v[0:1], v[7:8], -v[2:3]
	v_mul_f64 v[0:1], v[5:6], s[0:1]
	v_mul_f64 v[2:3], v[2:3], s[0:1]
	v_mov_b32_e32 v6, s3
	v_add_co_u32_e32 v5, vcc, s2, v15
	v_addc_co_u32_e32 v6, vcc, v16, v6, vcc
	global_store_dwordx4 v[5:6], v[0:3], off
	global_load_dwordx4 v[0:3], v[13:14], off offset:3248
	v_add_co_u32_e32 v13, vcc, s4, v19
	v_addc_co_u32_e32 v14, vcc, 0, v20, vcc
	v_add_co_u32_e32 v15, vcc, s2, v5
	s_waitcnt vmcnt(0) lgkmcnt(0)
	v_mul_f64 v[7:8], v[11:12], v[2:3]
	v_mul_f64 v[2:3], v[9:10], v[2:3]
	v_fma_f64 v[7:8], v[9:10], v[0:1], v[7:8]
	v_fma_f64 v[2:3], v[0:1], v[11:12], -v[2:3]
	v_mov_b32_e32 v9, s3
	v_addc_co_u32_e32 v16, vcc, v6, v9, vcc
	v_mul_f64 v[0:1], v[7:8], s[0:1]
	v_mul_f64 v[2:3], v[2:3], s[0:1]
	global_store_dwordx4 v[15:16], v[0:3], off
	global_load_dwordx4 v[0:3], v[13:14], off offset:32
	ds_read_b128 v[5:8], v4 offset:12320
	ds_read_b128 v[9:12], v4 offset:13200
	s_waitcnt vmcnt(0) lgkmcnt(1)
	v_mul_f64 v[17:18], v[7:8], v[2:3]
	v_mul_f64 v[2:3], v[5:6], v[2:3]
	v_fma_f64 v[5:6], v[5:6], v[0:1], v[17:18]
	v_fma_f64 v[2:3], v[0:1], v[7:8], -v[2:3]
	v_mul_f64 v[0:1], v[5:6], s[0:1]
	v_mul_f64 v[2:3], v[2:3], s[0:1]
	v_mov_b32_e32 v6, s3
	v_add_co_u32_e32 v5, vcc, s2, v15
	v_addc_co_u32_e32 v6, vcc, v16, v6, vcc
	global_store_dwordx4 v[5:6], v[0:3], off
	global_load_dwordx4 v[0:3], v[13:14], off offset:912
	s_waitcnt vmcnt(0) lgkmcnt(0)
	v_mul_f64 v[7:8], v[11:12], v[2:3]
	v_mul_f64 v[2:3], v[9:10], v[2:3]
	v_fma_f64 v[7:8], v[9:10], v[0:1], v[7:8]
	v_fma_f64 v[2:3], v[0:1], v[11:12], -v[2:3]
	v_mul_f64 v[0:1], v[7:8], s[0:1]
	v_mul_f64 v[2:3], v[2:3], s[0:1]
	v_mov_b32_e32 v7, s3
	v_add_co_u32_e32 v8, vcc, s2, v5
	v_addc_co_u32_e32 v9, vcc, v6, v7, vcc
	ds_read_b128 v[4:7], v4 offset:14080
	global_store_dwordx4 v[8:9], v[0:3], off
	global_load_dwordx4 v[0:3], v[13:14], off offset:1792
	s_waitcnt vmcnt(0) lgkmcnt(0)
	v_mul_f64 v[10:11], v[6:7], v[2:3]
	v_mul_f64 v[2:3], v[4:5], v[2:3]
	v_fma_f64 v[4:5], v[4:5], v[0:1], v[10:11]
	v_fma_f64 v[2:3], v[0:1], v[6:7], -v[2:3]
	v_mul_f64 v[0:1], v[4:5], s[0:1]
	v_mul_f64 v[2:3], v[2:3], s[0:1]
	v_mov_b32_e32 v5, s3
	v_add_co_u32_e32 v4, vcc, s2, v8
	v_addc_co_u32_e32 v5, vcc, v9, v5, vcc
	global_store_dwordx4 v[4:5], v[0:3], off
.LBB0_23:
	s_endpgm
	.section	.rodata,"a",@progbits
	.p2align	6, 0x0
	.amdhsa_kernel bluestein_single_fwd_len935_dim1_dp_op_CI_CI
		.amdhsa_group_segment_fixed_size 44880
		.amdhsa_private_segment_fixed_size 688
		.amdhsa_kernarg_size 104
		.amdhsa_user_sgpr_count 6
		.amdhsa_user_sgpr_private_segment_buffer 1
		.amdhsa_user_sgpr_dispatch_ptr 0
		.amdhsa_user_sgpr_queue_ptr 0
		.amdhsa_user_sgpr_kernarg_segment_ptr 1
		.amdhsa_user_sgpr_dispatch_id 0
		.amdhsa_user_sgpr_flat_scratch_init 0
		.amdhsa_user_sgpr_private_segment_size 0
		.amdhsa_uses_dynamic_stack 0
		.amdhsa_system_sgpr_private_segment_wavefront_offset 1
		.amdhsa_system_sgpr_workgroup_id_x 1
		.amdhsa_system_sgpr_workgroup_id_y 0
		.amdhsa_system_sgpr_workgroup_id_z 0
		.amdhsa_system_sgpr_workgroup_info 0
		.amdhsa_system_vgpr_workitem_id 0
		.amdhsa_next_free_vgpr 256
		.amdhsa_next_free_sgpr 68
		.amdhsa_reserve_vcc 1
		.amdhsa_reserve_flat_scratch 0
		.amdhsa_float_round_mode_32 0
		.amdhsa_float_round_mode_16_64 0
		.amdhsa_float_denorm_mode_32 3
		.amdhsa_float_denorm_mode_16_64 3
		.amdhsa_dx10_clamp 1
		.amdhsa_ieee_mode 1
		.amdhsa_fp16_overflow 0
		.amdhsa_exception_fp_ieee_invalid_op 0
		.amdhsa_exception_fp_denorm_src 0
		.amdhsa_exception_fp_ieee_div_zero 0
		.amdhsa_exception_fp_ieee_overflow 0
		.amdhsa_exception_fp_ieee_underflow 0
		.amdhsa_exception_fp_ieee_inexact 0
		.amdhsa_exception_int_div_zero 0
	.end_amdhsa_kernel
	.text
.Lfunc_end0:
	.size	bluestein_single_fwd_len935_dim1_dp_op_CI_CI, .Lfunc_end0-bluestein_single_fwd_len935_dim1_dp_op_CI_CI
                                        ; -- End function
	.section	.AMDGPU.csdata,"",@progbits
; Kernel info:
; codeLenInByte = 34948
; NumSgprs: 72
; NumVgprs: 256
; ScratchSize: 688
; MemoryBound: 0
; FloatMode: 240
; IeeeMode: 1
; LDSByteSize: 44880 bytes/workgroup (compile time only)
; SGPRBlocks: 8
; VGPRBlocks: 63
; NumSGPRsForWavesPerEU: 72
; NumVGPRsForWavesPerEU: 256
; Occupancy: 1
; WaveLimiterHint : 1
; COMPUTE_PGM_RSRC2:SCRATCH_EN: 1
; COMPUTE_PGM_RSRC2:USER_SGPR: 6
; COMPUTE_PGM_RSRC2:TRAP_HANDLER: 0
; COMPUTE_PGM_RSRC2:TGID_X_EN: 1
; COMPUTE_PGM_RSRC2:TGID_Y_EN: 0
; COMPUTE_PGM_RSRC2:TGID_Z_EN: 0
; COMPUTE_PGM_RSRC2:TIDIG_COMP_CNT: 0
	.type	__hip_cuid_181bd6c49840f2,@object ; @__hip_cuid_181bd6c49840f2
	.section	.bss,"aw",@nobits
	.globl	__hip_cuid_181bd6c49840f2
__hip_cuid_181bd6c49840f2:
	.byte	0                               ; 0x0
	.size	__hip_cuid_181bd6c49840f2, 1

	.ident	"AMD clang version 19.0.0git (https://github.com/RadeonOpenCompute/llvm-project roc-6.4.0 25133 c7fe45cf4b819c5991fe208aaa96edf142730f1d)"
	.section	".note.GNU-stack","",@progbits
	.addrsig
	.addrsig_sym __hip_cuid_181bd6c49840f2
	.amdgpu_metadata
---
amdhsa.kernels:
  - .args:
      - .actual_access:  read_only
        .address_space:  global
        .offset:         0
        .size:           8
        .value_kind:     global_buffer
      - .actual_access:  read_only
        .address_space:  global
        .offset:         8
        .size:           8
        .value_kind:     global_buffer
      - .actual_access:  read_only
        .address_space:  global
        .offset:         16
        .size:           8
        .value_kind:     global_buffer
      - .actual_access:  read_only
        .address_space:  global
        .offset:         24
        .size:           8
        .value_kind:     global_buffer
      - .actual_access:  read_only
        .address_space:  global
        .offset:         32
        .size:           8
        .value_kind:     global_buffer
      - .offset:         40
        .size:           8
        .value_kind:     by_value
      - .address_space:  global
        .offset:         48
        .size:           8
        .value_kind:     global_buffer
      - .address_space:  global
        .offset:         56
        .size:           8
        .value_kind:     global_buffer
      - .address_space:  global
        .offset:         64
        .size:           8
        .value_kind:     global_buffer
      - .address_space:  global
        .offset:         72
        .size:           8
        .value_kind:     global_buffer
      - .offset:         80
        .size:           4
        .value_kind:     by_value
      - .address_space:  global
        .offset:         88
        .size:           8
        .value_kind:     global_buffer
      - .address_space:  global
        .offset:         96
        .size:           8
        .value_kind:     global_buffer
    .group_segment_fixed_size: 44880
    .kernarg_segment_align: 8
    .kernarg_segment_size: 104
    .language:       OpenCL C
    .language_version:
      - 2
      - 0
    .max_flat_workgroup_size: 255
    .name:           bluestein_single_fwd_len935_dim1_dp_op_CI_CI
    .private_segment_fixed_size: 688
    .sgpr_count:     72
    .sgpr_spill_count: 0
    .symbol:         bluestein_single_fwd_len935_dim1_dp_op_CI_CI.kd
    .uniform_work_group_size: 1
    .uses_dynamic_stack: false
    .vgpr_count:     256
    .vgpr_spill_count: 297
    .wavefront_size: 64
amdhsa.target:   amdgcn-amd-amdhsa--gfx906
amdhsa.version:
  - 1
  - 2
...

	.end_amdgpu_metadata
